;; amdgpu-corpus repo=ROCm/bitsandbytes kind=harvested arch=n/a opt=n/a
	.text
	.amdgcn_target "amdgcn-amd-amdhsa--gfx90a"
	.amdhsa_code_object_version 6
	.protected	_Z27kspmm_coo_very_sparse_naiveIaLi32ELi8EEvPiS0_S0_S0_S0_P6__halfPT_S2_Pfiiii ; -- Begin function _Z27kspmm_coo_very_sparse_naiveIaLi32ELi8EEvPiS0_S0_S0_S0_P6__halfPT_S2_Pfiiii
	.globl	_Z27kspmm_coo_very_sparse_naiveIaLi32ELi8EEvPiS0_S0_S0_S0_P6__halfPT_S2_Pfiiii
	.p2align	8
	.type	_Z27kspmm_coo_very_sparse_naiveIaLi32ELi8EEvPiS0_S0_S0_S0_P6__halfPT_S2_Pfiiii,@function
_Z27kspmm_coo_very_sparse_naiveIaLi32ELi8EEvPiS0_S0_S0_S0_P6__halfPT_S2_Pfiiii: ; @_Z27kspmm_coo_very_sparse_naiveIaLi32ELi8EEvPiS0_S0_S0_S0_P6__halfPT_S2_Pfiiii
; %bb.0:
	s_load_dwordx16 s[72:87], s[4:5], 0x0
	s_add_u32 s0, s0, s9
	s_mov_b32 s9, 0
	s_addc_u32 s1, s1, 0
	s_lshl_b64 s[6:7], s[8:9], 2
	s_waitcnt lgkmcnt(0)
	s_add_u32 s12, s72, s6
	s_addc_u32 s13, s73, s7
	s_add_u32 s6, s74, s6
	s_addc_u32 s7, s75, s7
	s_load_dword s10, s[6:7], 0x0
	s_load_dword s72, s[12:13], 0x0
	s_mov_b32 s6, 0
	s_waitcnt lgkmcnt(0)
	s_cmp_eq_u32 s10, 0
	s_cbranch_scc1 .LBB36_2
; %bb.1:
	s_ashr_i32 s11, s10, 31
	s_lshl_b64 s[6:7], s[10:11], 2
	s_add_u32 s6, s76, s6
	s_addc_u32 s7, s77, s7
	s_add_u32 s6, s6, -4
	s_addc_u32 s7, s7, -1
	s_load_dword s6, s[6:7], 0x0
.LBB36_2:
	s_waitcnt lgkmcnt(0)
	s_ashr_i32 s7, s6, 31
	s_lshl_b64 s[10:11], s[6:7], 2
	s_add_u32 s12, s78, s10
	s_addc_u32 s13, s79, s11
	s_cmp_lt_i32 s72, 1
	s_cselect_b64 s[16:17], -1, 0
	s_cmp_gt_i32 s72, 0
	v_mov_b32_e32 v1, 0
	v_mov_b32_e32 v2, 0
	s_cbranch_scc0 .LBB36_4
; %bb.3:
	s_lshl_b64 s[8:9], s[6:7], 1
	s_add_u32 s8, s82, s8
	s_addc_u32 s9, s83, s9
	v_mov_b32_e32 v2, 0
	global_load_ushort v2, v2, s[8:9]
	s_add_u32 s8, s80, s10
	s_addc_u32 s9, s81, s11
	s_load_dword s9, s[8:9], 0x0
.LBB36_4:
	s_nop 0
	s_load_dword s8, s[12:13], 0x0
	s_waitcnt vmcnt(0)
	buffer_store_short v2, off, s[0:3], 0
	s_waitcnt lgkmcnt(0)
	v_mov_b32_e32 v2, s9
	s_mov_b32 s9, 0
	s_cmp_lt_i32 s72, 2
	s_mov_b32 s12, 0
	buffer_store_dword v2, off, s[0:3], 0 offset:64
	s_cbranch_scc1 .LBB36_6
; %bb.5:
	s_lshl_b64 s[12:13], s[6:7], 1
	s_add_u32 s12, s82, s12
	s_addc_u32 s13, s83, s13
	v_mov_b32_e32 v1, 0
	global_load_ushort v1, v1, s[12:13] offset:2
	s_add_u32 s12, s80, s10
	s_addc_u32 s13, s81, s11
	s_load_dword s12, s[12:13], 0x4
.LBB36_6:
	s_waitcnt vmcnt(0)
	buffer_store_short v1, off, s[0:3], 0 offset:2
	s_waitcnt lgkmcnt(0)
	v_mov_b32_e32 v1, s12
	buffer_store_dword v1, off, s[0:3], 0 offset:68
	s_cmp_lt_i32 s72, 3
	v_mov_b32_e32 v1, 0
	v_mov_b32_e32 v2, 0
	s_cbranch_scc1 .LBB36_8
; %bb.7:
	s_lshl_b64 s[12:13], s[6:7], 1
	s_add_u32 s12, s82, s12
	s_addc_u32 s13, s83, s13
	v_mov_b32_e32 v2, 0
	global_load_ushort v2, v2, s[12:13] offset:4
	s_add_u32 s12, s80, s10
	s_addc_u32 s13, s81, s11
	s_load_dword s9, s[12:13], 0x8
.LBB36_8:
	s_waitcnt vmcnt(0)
	buffer_store_short v2, off, s[0:3], 0 offset:4
	s_waitcnt lgkmcnt(0)
	v_mov_b32_e32 v2, s9
	s_mov_b32 s9, 0
	s_cmp_lt_i32 s72, 4
	s_mov_b32 s12, 0
	buffer_store_dword v2, off, s[0:3], 0 offset:72
	s_cbranch_scc1 .LBB36_10
; %bb.9:
	s_lshl_b64 s[12:13], s[6:7], 1
	s_add_u32 s12, s82, s12
	s_addc_u32 s13, s83, s13
	v_mov_b32_e32 v1, 0
	global_load_ushort v1, v1, s[12:13] offset:6
	s_add_u32 s12, s80, s10
	s_addc_u32 s13, s81, s11
	s_load_dword s12, s[12:13], 0xc
.LBB36_10:
	s_waitcnt vmcnt(0)
	buffer_store_short v1, off, s[0:3], 0 offset:6
	s_waitcnt lgkmcnt(0)
	v_mov_b32_e32 v1, s12
	buffer_store_dword v1, off, s[0:3], 0 offset:76
	s_cmp_lt_i32 s72, 5
	v_mov_b32_e32 v1, 0
	v_mov_b32_e32 v2, 0
	s_cbranch_scc1 .LBB36_12
; %bb.11:
	s_lshl_b64 s[12:13], s[6:7], 1
	s_add_u32 s12, s82, s12
	s_addc_u32 s13, s83, s13
	v_mov_b32_e32 v2, 0
	global_load_ushort v2, v2, s[12:13] offset:8
	s_add_u32 s12, s80, s10
	s_addc_u32 s13, s81, s11
	s_load_dword s9, s[12:13], 0x10
.LBB36_12:
	s_waitcnt vmcnt(0)
	buffer_store_short v2, off, s[0:3], 0 offset:8
	;; [unrolled: 38-line block ×15, first 2 shown]
	s_waitcnt lgkmcnt(0)
	v_mov_b32_e32 v2, s9
	s_cmp_lt_i32 s72, 32
	s_mov_b32 s9, 0
	buffer_store_dword v2, off, s[0:3], 0 offset:184
	s_cbranch_scc1 .LBB36_66
; %bb.65:
	s_lshl_b64 s[6:7], s[6:7], 1
	s_add_u32 s6, s82, s6
	s_addc_u32 s7, s83, s7
	v_mov_b32_e32 v1, 0
	global_load_ushort v1, v1, s[6:7] offset:62
	s_add_u32 s6, s80, s10
	s_addc_u32 s7, s81, s11
	s_load_dword s9, s[6:7], 0x7c
.LBB36_66:
	s_load_dword s82, s[4:5], 0x54
	v_lshlrev_b32_e32 v2, 5, v0
	v_and_b32_e32 v10, 0x7800, v2
	s_waitcnt vmcnt(0)
	buffer_store_short v1, off, s[0:3], 0 offset:62
	s_waitcnt lgkmcnt(0)
	v_mov_b32_e32 v1, s9
	v_cmp_gt_i32_e32 vcc, s82, v10
	buffer_store_dword v1, off, s[0:3], 0 offset:188
	s_and_saveexec_b64 s[6:7], vcc
	s_cbranch_execz .LBB36_434
; %bb.67:
	s_load_dwordx2 s[6:7], s[4:5], 0x40
	s_mul_i32 s83, s8, s82
	s_load_dword s8, s[4:5], 0x64
                                        ; implicit-def: $vgpr69 : SGPR spill to VGPR lane
                                        ; implicit-def: $vgpr68 : SGPR spill to VGPR lane
	v_and_b32_e32 v11, 0x7e0, v2
	v_or_b32_e32 v1, v10, v11
	s_waitcnt lgkmcnt(0)
	s_cmp_lg_u64 s[6:7], 0
	s_cselect_b64 s[10:11], -1, 0
	s_add_u32 s4, s4, 0x58
	s_addc_u32 s5, s5, 0
	v_writelane_b32 v69, s4, 0
	v_writelane_b32 v69, s5, 1
	s_and_b32 s4, s8, 0xffff
	s_lshl_b32 s73, s4, 5
	s_add_u32 s4, s86, 2
	v_writelane_b32 v69, s4, 2
	s_addc_u32 s4, s87, 0
	v_writelane_b32 v69, s4, 3
	s_add_u32 s4, s86, 4
	v_writelane_b32 v69, s4, 4
	s_addc_u32 s4, s87, 0
	v_writelane_b32 v69, s4, 5
	;; [unrolled: 4-line block ×6, first 2 shown]
	s_add_u32 s4, s86, 14
	v_writelane_b32 v69, s4, 14
	s_addc_u32 s4, s87, 0
	s_add_u32 s66, s84, 8
	s_addc_u32 s67, s85, 0
	v_writelane_b32 v69, s4, 15
	s_add_u32 s4, s84, 9
	v_writelane_b32 v69, s4, 16
	s_addc_u32 s4, s85, 0
	v_writelane_b32 v69, s4, 17
	s_add_u32 s4, s84, 10
	v_writelane_b32 v69, s4, 18
	;; [unrolled: 4-line block ×14, first 2 shown]
	s_addc_u32 s4, s85, 0
	v_writelane_b32 v69, s4, 43
	v_writelane_b32 v69, s10, 44
	v_writelane_b32 v69, s11, 45
	s_add_u32 s4, s84, 23
	v_writelane_b32 v69, s4, 46
	s_addc_u32 s4, s85, 0
	v_writelane_b32 v69, s4, 47
	s_add_u32 s4, s84, 24
	v_writelane_b32 v69, s4, 48
	s_addc_u32 s4, s85, 0
	v_writelane_b32 v69, s4, 49
	;; [unrolled: 4-line block ×8, first 2 shown]
	s_add_u32 s4, s84, 31
	v_writelane_b32 v69, s4, 62
	s_addc_u32 s4, s85, 0
	s_ashr_i32 s68, s83, 31
	v_writelane_b32 v69, s4, 63
	s_add_u32 s4, s86, 16
	v_writelane_b32 v68, s4, 0
	s_addc_u32 s4, s87, 0
	v_writelane_b32 v68, s4, 1
	s_add_u32 s4, s86, 18
	v_writelane_b32 v68, s4, 2
	s_addc_u32 s4, s87, 0
	;; [unrolled: 4-line block ×23, first 2 shown]
	v_writelane_b32 v68, s4, 45
	s_add_u32 s4, s86, 62
	v_lshlrev_b32_e32 v12, 1, v1
	v_add_lshl_u32 v1, v0, v10, 2
	v_writelane_b32 v68, s4, 46
	s_addc_u32 s4, s87, 0
	v_mov_b32_e32 v3, s7
	v_add_co_u32_e32 v2, vcc, s6, v1
	v_writelane_b32 v68, s4, 47
	v_addc_co_u32_e32 v3, vcc, 0, v3, vcc
	v_cndmask_b32_e64 v13, 0, 1, s[10:11]
	v_lshlrev_b32_e32 v14, 1, v0
	v_mov_b32_e32 v15, 0
	v_mov_b32_e32 v16, v10
	s_movk_i32 s69, 0x7ff
	s_mov_b32 s70, 0x42fe0000
	s_mov_b32 s71, 0x5040100
	s_mov_b64 s[92:93], 0
	v_writelane_b32 v68, s16, 48
	v_writelane_b32 v68, s17, 49
	s_branch .LBB36_69
.LBB36_68:                              ;   in Loop: Header=BB36_69 Depth=1
	s_or_b64 exec, exec, s[4:5]
	v_add_u32_e32 v16, s73, v16
	v_cmp_le_i32_e32 vcc, s82, v16
	s_or_b64 s[92:93], vcc, s[92:93]
	s_andn2_b64 exec, exec, s[92:93]
	s_cbranch_execz .LBB36_434
.LBB36_69:                              ; =>This Loop Header: Depth=1
                                        ;     Child Loop BB36_72 Depth 2
                                        ;     Child Loop BB36_85 Depth 2
	v_readlane_b32 s6, v69, 44
	v_readlane_b32 s7, v69, 45
	v_cmp_ne_u32_e64 s[4:5], 1, v13
	s_andn2_b64 vcc, exec, s[6:7]
	s_cbranch_vccnz .LBB36_75
; %bb.70:                               ;   in Loop: Header=BB36_69 Depth=1
	v_readlane_b32 s6, v69, 0
	v_readlane_b32 s7, v69, 1
	s_load_dword s8, s[6:7], 0xc
	s_mov_b32 s9, 0
	s_mov_b64 s[6:7], 0
	v_mov_b32_e32 v1, s9
	v_pk_mov_b32 v[4:5], v[2:3], v[2:3] op_sel:[0,1]
	s_waitcnt lgkmcnt(0)
	s_and_b32 s10, s8, 0xffff
	s_lshl_b32 s11, s10, 1
	s_lshl_b32 s12, s10, 2
	v_mov_b32_e32 v6, v14
	v_mov_b32_e32 v7, v0
	s_branch .LBB36_72
.LBB36_71:                              ;   in Loop: Header=BB36_72 Depth=2
	s_or_b64 exec, exec, s[8:9]
	v_add_u32_e32 v7, s10, v7
	v_cmp_lt_u32_e32 vcc, s69, v7
	s_or_b64 s[6:7], vcc, s[6:7]
	v_add_co_u32_e32 v4, vcc, s12, v4
	v_add_u32_e32 v6, s11, v6
	v_addc_co_u32_e32 v5, vcc, v5, v1, vcc
	s_andn2_b64 exec, exec, s[6:7]
	s_cbranch_execz .LBB36_74
.LBB36_72:                              ;   Parent Loop BB36_69 Depth=1
                                        ; =>  This Inner Loop Header: Depth=2
	v_add_u32_e32 v8, v10, v7
	v_cmp_gt_i32_e32 vcc, s82, v8
	s_and_saveexec_b64 s[8:9], vcc
	s_cbranch_execz .LBB36_71
; %bb.73:                               ;   in Loop: Header=BB36_72 Depth=2
	global_load_dword v8, v[4:5], off
	s_waitcnt vmcnt(0)
	v_cvt_f16_f32_e32 v8, v8
	ds_write_b16 v6, v8
	s_branch .LBB36_71
.LBB36_74:                              ;   in Loop: Header=BB36_69 Depth=1
	s_or_b64 exec, exec, s[6:7]
	s_waitcnt lgkmcnt(0)
	s_barrier
.LBB36_75:                              ;   in Loop: Header=BB36_69 Depth=1
	s_andn2_b64 vcc, exec, s[16:17]
	v_add_u32_e32 v4, v16, v11
	s_cbranch_vccnz .LBB36_77
; %bb.76:                               ;   in Loop: Header=BB36_69 Depth=1
	v_or_b32_e32 v25, 8, v4
	s_mov_b64 s[6:7], 0
	s_mov_b32 s8, 0
	s_branch .LBB36_78
.LBB36_77:                              ;   in Loop: Header=BB36_69 Depth=1
	s_mov_b64 s[6:7], -1
                                        ; implicit-def: $sgpr8
                                        ; implicit-def: $vgpr25
.LBB36_78:                              ;   in Loop: Header=BB36_69 Depth=1
	v_mov_b32_e32 v57, s8
	v_or_b32_e32 v21, 16, v4
	v_or_b32_e32 v17, 24, v4
	v_add_u32_e32 v18, 32, v4
	s_andn2_b64 vcc, exec, s[6:7]
	v_cmp_gt_i32_e64 s[6:7], s82, v21
	v_cmp_le_i32_e64 s[8:9], s82, v21
	v_cmp_gt_i32_e64 s[10:11], s82, v17
	v_cmp_le_i32_e64 s[12:13], s82, v17
	v_cmp_le_i32_e64 s[14:15], s82, v18
	v_mov_b32_e32 v9, v57
	v_mov_b32_e32 v8, v57
	;; [unrolled: 1-line block ×31, first 2 shown]
	s_cbranch_vccnz .LBB36_354
; %bb.79:                               ;   in Loop: Header=BB36_69 Depth=1
	v_or_b32_e32 v1, 1, v4
	v_cmp_gt_i32_e64 s[22:23], s82, v1
	v_or_b32_e32 v1, 2, v4
	v_cmp_gt_i32_e64 s[24:25], s82, v1
	;; [unrolled: 2-line block ×22, first 2 shown]
	v_writelane_b32 v68, s74, 50
	v_or_b32_e32 v1, 26, v4
	v_writelane_b32 v68, s75, 51
	v_cmp_gt_i32_e64 s[74:75], s82, v1
	v_writelane_b32 v68, s74, 52
	v_or_b32_e32 v1, 27, v4
	v_writelane_b32 v68, s75, 53
	v_cmp_gt_i32_e64 s[74:75], s82, v1
	;; [unrolled: 4-line block ×4, first 2 shown]
	v_or_b32_e32 v1, 30, v4
	v_or_b32_e32 v25, 8, v4
	v_cmp_gt_i32_e64 s[76:77], s82, v1
	v_or_b32_e32 v1, 31, v4
	v_cmp_gt_i32_e64 s[16:17], s82, v4
	v_cmp_gt_i32_e64 s[18:19], s82, v25
	v_cmp_le_i32_e64 s[20:21], s82, v25
	v_cmp_gt_i32_e64 s[78:79], s82, v1
	v_ashrrev_i32_e32 v1, 31, v4
	v_mov_b32_e32 v28, 64
	v_mov_b32_e32 v29, 0
	;; [unrolled: 1-line block ×3, first 2 shown]
	s_mov_b32 s33, s72
	v_mov_b32_e32 v19, 0
	v_mov_b32_e32 v20, 0
	;; [unrolled: 1-line block ×31, first 2 shown]
	s_branch .LBB36_85
.LBB36_80:                              ;   in Loop: Header=BB36_85 Depth=2
	v_mov_b32_e32 v27, v30
	v_mov_b32_e32 v26, v31
	;; [unrolled: 1-line block ×8, first 2 shown]
.LBB36_81:                              ;   in Loop: Header=BB36_85 Depth=2
	s_or_b64 exec, exec, s[90:91]
	v_mov_b32_e32 v44, v48
	v_mov_b32_e32 v42, v51
	;; [unrolled: 1-line block ×8, first 2 shown]
.LBB36_82:                              ;   in Loop: Header=BB36_85 Depth=2
	s_or_b64 exec, exec, s[98:99]
	v_mov_b32_e32 v63, v47
	v_mov_b32_e32 v62, v49
	v_mov_b32_e32 v61, v52
	v_mov_b32_e32 v59, v53
	v_mov_b32_e32 v56, v55
	v_mov_b32_e32 v54, v57
	v_mov_b32_e32 v51, v58
	v_mov_b32_e32 v48, v60
.LBB36_83:                              ;   in Loop: Header=BB36_85 Depth=2
	s_or_b64 exec, exec, s[96:97]
	v_mov_b32_e32 v57, v33
	v_mov_b32_e32 v9, v35
	;; [unrolled: 1-line block ×8, first 2 shown]
.LBB36_84:                              ;   in Loop: Header=BB36_85 Depth=2
	s_or_b64 exec, exec, s[94:95]
	s_add_i32 s33, s33, -1
	v_add_u32_e32 v28, 4, v28
	s_cmp_eq_u32 s33, 0
	v_add_u32_e32 v29, 2, v29
	s_cbranch_scc1 .LBB36_353
.LBB36_85:                              ;   Parent Loop BB36_69 Depth=1
                                        ; =>  This Inner Loop Header: Depth=2
	s_and_saveexec_b64 s[94:95], s[16:17]
	s_cbranch_execz .LBB36_84
; %bb.86:                               ;   in Loop: Header=BB36_85 Depth=2
	buffer_load_dword v6, v28, s[0:3], 0 offen
	s_waitcnt vmcnt(0)
	v_mul_lo_u32 v50, v6, s82
	v_add_u32_e32 v33, v4, v50
                                        ; implicit-def: $vgpr6_vgpr7
	s_and_saveexec_b64 s[80:81], s[20:21]
	s_xor_b64 s[80:81], exec, s[80:81]
	s_cbranch_execnz .LBB36_256
; %bb.87:                               ;   in Loop: Header=BB36_85 Depth=2
	s_andn2_saveexec_b64 s[80:81], s[80:81]
	s_cbranch_execnz .LBB36_269
.LBB36_88:                              ;   in Loop: Header=BB36_85 Depth=2
	s_or_b64 exec, exec, s[80:81]
	s_and_b64 vcc, exec, s[4:5]
	s_cbranch_vccnz .LBB36_270
.LBB36_89:                              ;   in Loop: Header=BB36_85 Depth=2
	buffer_load_ushort v40, v29, s[0:3], 0 offen
	s_waitcnt vmcnt(1)
	v_cmp_ne_u16_sdwa s[80:81], v6, v15 src0_sel:BYTE_0 src1_sel:DWORD
	v_mov_b32_e32 v33, v57
	s_waitcnt vmcnt(0)
	v_cmp_neq_f16_e32 vcc, 0, v40
	s_and_b64 s[88:89], s[80:81], vcc
	s_and_saveexec_b64 s[80:81], s[88:89]
	s_cbranch_execz .LBB36_91
; %bb.90:                               ;   in Loop: Header=BB36_85 Depth=2
	ds_read_u16 v33, v12
	v_bfe_i32 v35, v6, 0, 8
	v_cvt_f32_i32_sdwa v35, sext(v35) dst_sel:DWORD dst_unused:UNUSED_PAD src0_sel:WORD_0
	s_waitcnt lgkmcnt(0)
	v_cvt_f32_f16_e32 v33, v33
	v_div_scale_f32 v37, s[88:89], s70, s70, v33
	v_rcp_f32_e32 v38, v37
	v_div_scale_f32 v41, vcc, v33, s70, v33
	v_fma_f32 v43, -v37, v38, 1.0
	v_fmac_f32_e32 v38, v43, v38
	v_mul_f32_e32 v43, v41, v38
	v_fma_f32 v45, -v37, v43, v41
	v_fmac_f32_e32 v43, v45, v38
	v_fma_f32 v37, -v37, v43, v41
	v_div_fmas_f32 v37, v37, v38, v43
	v_div_fixup_f32 v33, v37, s70, v33
	v_mul_f32_e32 v33, v33, v35
	v_fma_mixlo_f16 v33, v33, v40, v57 op_sel_hi:[0,1,1]
.LBB36_91:                              ;   in Loop: Header=BB36_85 Depth=2
	s_or_b64 exec, exec, s[80:81]
	s_cbranch_execnz .LBB36_93
.LBB36_92:                              ;   in Loop: Header=BB36_85 Depth=2
	buffer_load_ushort v40, v29, s[0:3], 0 offen
	s_waitcnt vmcnt(1)
	v_bfe_i32 v33, v6, 0, 8
	v_cvt_f32_i32_sdwa v33, sext(v33) dst_sel:DWORD dst_unused:UNUSED_PAD src0_sel:WORD_0
	s_waitcnt vmcnt(0)
	v_fma_mixlo_f16 v33, v33, v40, v57 op_sel_hi:[0,1,1]
.LBB36_93:                              ;   in Loop: Header=BB36_85 Depth=2
	s_and_b64 vcc, exec, s[4:5]
	v_cmp_neq_f16_e64 s[80:81], 0, v40
	s_waitcnt vmcnt(0)
	v_lshrrev_b32_e32 v37, 8, v6
	s_cbranch_vccnz .LBB36_271
; %bb.94:                               ;   in Loop: Header=BB36_85 Depth=2
	v_cmp_ne_u16_sdwa s[88:89], v37, v15 src0_sel:BYTE_0 src1_sel:DWORD
	s_and_b64 s[88:89], s[88:89], s[80:81]
	v_mov_b32_e32 v35, v9
	s_and_saveexec_b64 s[80:81], s[88:89]
	s_cbranch_execz .LBB36_96
; %bb.95:                               ;   in Loop: Header=BB36_85 Depth=2
	ds_read_u16 v35, v12 offset:2
	v_bfe_i32 v38, v37, 0, 8
	v_cvt_f32_i32_sdwa v38, sext(v38) dst_sel:DWORD dst_unused:UNUSED_PAD src0_sel:WORD_0
	s_waitcnt lgkmcnt(0)
	v_cvt_f32_f16_e32 v35, v35
	v_div_scale_f32 v41, s[88:89], s70, s70, v35
	v_rcp_f32_e32 v43, v41
	v_div_scale_f32 v45, vcc, v35, s70, v35
	v_fma_f32 v46, -v41, v43, 1.0
	v_fmac_f32_e32 v43, v46, v43
	v_mul_f32_e32 v46, v45, v43
	v_fma_f32 v57, -v41, v46, v45
	v_fmac_f32_e32 v46, v57, v43
	v_fma_f32 v41, -v41, v46, v45
	v_div_fmas_f32 v41, v41, v43, v46
	v_div_fixup_f32 v35, v41, s70, v35
	v_mul_f32_e32 v35, v35, v38
	v_fma_mixlo_f16 v35, v35, v40, v9 op_sel_hi:[0,1,1]
.LBB36_96:                              ;   in Loop: Header=BB36_85 Depth=2
	s_or_b64 exec, exec, s[80:81]
	s_cbranch_execnz .LBB36_98
.LBB36_97:                              ;   in Loop: Header=BB36_85 Depth=2
	v_bfe_i32 v35, v37, 0, 8
	v_cvt_f32_i32_sdwa v35, sext(v35) dst_sel:DWORD dst_unused:UNUSED_PAD src0_sel:WORD_0
	v_fma_mixlo_f16 v35, v35, v40, v9 op_sel_hi:[0,1,1]
.LBB36_98:                              ;   in Loop: Header=BB36_85 Depth=2
	s_and_b64 vcc, exec, s[4:5]
	v_lshrrev_b32_e32 v9, 16, v6
	s_cbranch_vccnz .LBB36_272
; %bb.99:                               ;   in Loop: Header=BB36_85 Depth=2
	v_cmp_ne_u16_sdwa s[80:81], v9, v15 src0_sel:BYTE_0 src1_sel:DWORD
	v_cmp_neq_f16_e32 vcc, 0, v40
	s_and_b64 s[88:89], s[80:81], vcc
	v_mov_b32_e32 v37, v8
	s_and_saveexec_b64 s[80:81], s[88:89]
	s_cbranch_execz .LBB36_101
; %bb.100:                              ;   in Loop: Header=BB36_85 Depth=2
	ds_read_u16 v37, v12 offset:4
	v_bfe_i32 v38, v9, 0, 8
	v_cvt_f32_i32_sdwa v38, sext(v38) dst_sel:DWORD dst_unused:UNUSED_PAD src0_sel:WORD_0
	s_waitcnt lgkmcnt(0)
	v_cvt_f32_f16_e32 v37, v37
	v_div_scale_f32 v41, s[88:89], s70, s70, v37
	v_rcp_f32_e32 v43, v41
	v_div_scale_f32 v45, vcc, v37, s70, v37
	v_fma_f32 v46, -v41, v43, 1.0
	v_fmac_f32_e32 v43, v46, v43
	v_mul_f32_e32 v46, v45, v43
	v_fma_f32 v57, -v41, v46, v45
	v_fmac_f32_e32 v46, v57, v43
	v_fma_f32 v41, -v41, v46, v45
	v_div_fmas_f32 v41, v41, v43, v46
	v_div_fixup_f32 v37, v41, s70, v37
	v_mul_f32_e32 v37, v37, v38
	v_fma_mixlo_f16 v37, v37, v40, v8 op_sel_hi:[0,1,1]
.LBB36_101:                             ;   in Loop: Header=BB36_85 Depth=2
	s_or_b64 exec, exec, s[80:81]
	s_cbranch_execnz .LBB36_103
.LBB36_102:                             ;   in Loop: Header=BB36_85 Depth=2
	v_bfe_i32 v9, v9, 0, 8
	v_cvt_f32_i32_sdwa v9, sext(v9) dst_sel:DWORD dst_unused:UNUSED_PAD src0_sel:WORD_0
	v_fma_mixlo_f16 v37, v9, v40, v8 op_sel_hi:[0,1,1]
.LBB36_103:                             ;   in Loop: Header=BB36_85 Depth=2
	s_and_b64 vcc, exec, s[4:5]
	s_cbranch_vccnz .LBB36_273
; %bb.104:                              ;   in Loop: Header=BB36_85 Depth=2
	v_lshrrev_b64 v[8:9], 24, v[6:7]
	v_cmp_ne_u16_sdwa s[80:81], v8, v15 src0_sel:BYTE_0 src1_sel:DWORD
	v_cmp_neq_f16_e32 vcc, 0, v40
	s_and_b64 s[88:89], s[80:81], vcc
	v_mov_b32_e32 v38, v55
	s_and_saveexec_b64 s[80:81], s[88:89]
	s_cbranch_execz .LBB36_106
; %bb.105:                              ;   in Loop: Header=BB36_85 Depth=2
	ds_read_u16 v9, v12 offset:6
	v_bfe_i32 v8, v8, 0, 8
	v_cvt_f32_i32_sdwa v8, sext(v8) dst_sel:DWORD dst_unused:UNUSED_PAD src0_sel:WORD_0
	s_waitcnt lgkmcnt(0)
	v_cvt_f32_f16_e32 v9, v9
	v_div_scale_f32 v38, s[88:89], s70, s70, v9
	v_rcp_f32_e32 v41, v38
	v_div_scale_f32 v43, vcc, v9, s70, v9
	v_fma_f32 v45, -v38, v41, 1.0
	v_fmac_f32_e32 v41, v45, v41
	v_mul_f32_e32 v45, v43, v41
	v_fma_f32 v46, -v38, v45, v43
	v_fmac_f32_e32 v45, v46, v41
	v_fma_f32 v38, -v38, v45, v43
	v_div_fmas_f32 v38, v38, v41, v45
	v_div_fixup_f32 v9, v38, s70, v9
	v_mul_f32_e32 v8, v9, v8
	v_fma_mixlo_f16 v38, v8, v40, v55 op_sel_hi:[0,1,1]
.LBB36_106:                             ;   in Loop: Header=BB36_85 Depth=2
	s_or_b64 exec, exec, s[80:81]
	s_cbranch_execnz .LBB36_108
.LBB36_107:                             ;   in Loop: Header=BB36_85 Depth=2
	v_lshrrev_b32_e32 v6, 24, v6
	v_bfe_i32 v6, v6, 0, 8
	v_cvt_f32_i32_sdwa v6, sext(v6) dst_sel:DWORD dst_unused:UNUSED_PAD src0_sel:WORD_0
	v_fma_mixlo_f16 v38, v6, v40, v55 op_sel_hi:[0,1,1]
.LBB36_108:                             ;   in Loop: Header=BB36_85 Depth=2
	s_and_b64 vcc, exec, s[4:5]
	s_cbranch_vccnz .LBB36_274
; %bb.109:                              ;   in Loop: Header=BB36_85 Depth=2
	v_cmp_ne_u16_sdwa s[80:81], v7, v15 src0_sel:BYTE_0 src1_sel:DWORD
	v_cmp_neq_f16_e32 vcc, 0, v40
	s_and_b64 s[88:89], s[80:81], vcc
	v_mov_b32_e32 v41, v53
	s_and_saveexec_b64 s[80:81], s[88:89]
	s_cbranch_execz .LBB36_111
; %bb.110:                              ;   in Loop: Header=BB36_85 Depth=2
	ds_read_u16 v6, v12 offset:8
	v_bfe_i32 v8, v7, 0, 8
	v_cvt_f32_i32_sdwa v8, sext(v8) dst_sel:DWORD dst_unused:UNUSED_PAD src0_sel:WORD_0
	s_waitcnt lgkmcnt(0)
	v_cvt_f32_f16_e32 v6, v6
	v_div_scale_f32 v9, s[88:89], s70, s70, v6
	v_rcp_f32_e32 v41, v9
	v_div_scale_f32 v43, vcc, v6, s70, v6
	v_fma_f32 v45, -v9, v41, 1.0
	v_fmac_f32_e32 v41, v45, v41
	v_mul_f32_e32 v45, v43, v41
	v_fma_f32 v46, -v9, v45, v43
	v_fmac_f32_e32 v45, v46, v41
	v_fma_f32 v9, -v9, v45, v43
	v_div_fmas_f32 v9, v9, v41, v45
	v_div_fixup_f32 v6, v9, s70, v6
	v_mul_f32_e32 v6, v6, v8
	v_fma_mixlo_f16 v41, v6, v40, v53 op_sel_hi:[0,1,1]
.LBB36_111:                             ;   in Loop: Header=BB36_85 Depth=2
	s_or_b64 exec, exec, s[80:81]
	s_cbranch_execnz .LBB36_113
.LBB36_112:                             ;   in Loop: Header=BB36_85 Depth=2
	v_bfe_i32 v6, v7, 0, 8
	v_cvt_f32_i32_sdwa v6, sext(v6) dst_sel:DWORD dst_unused:UNUSED_PAD src0_sel:WORD_0
	v_fma_mixlo_f16 v41, v6, v40, v53 op_sel_hi:[0,1,1]
.LBB36_113:                             ;   in Loop: Header=BB36_85 Depth=2
	s_and_b64 vcc, exec, s[4:5]
	v_lshrrev_b32_e32 v6, 8, v7
	s_cbranch_vccnz .LBB36_275
; %bb.114:                              ;   in Loop: Header=BB36_85 Depth=2
	v_cmp_ne_u16_sdwa s[80:81], v6, v15 src0_sel:BYTE_0 src1_sel:DWORD
	v_cmp_neq_f16_e32 vcc, 0, v40
	s_and_b64 s[88:89], s[80:81], vcc
	v_mov_b32_e32 v43, v52
	s_and_saveexec_b64 s[80:81], s[88:89]
	s_cbranch_execz .LBB36_116
; %bb.115:                              ;   in Loop: Header=BB36_85 Depth=2
	ds_read_u16 v8, v12 offset:10
	v_bfe_i32 v9, v6, 0, 8
	v_cvt_f32_i32_sdwa v9, sext(v9) dst_sel:DWORD dst_unused:UNUSED_PAD src0_sel:WORD_0
	s_waitcnt lgkmcnt(0)
	v_cvt_f32_f16_e32 v8, v8
	v_div_scale_f32 v43, s[88:89], s70, s70, v8
	v_rcp_f32_e32 v45, v43
	v_div_scale_f32 v46, vcc, v8, s70, v8
	v_fma_f32 v53, -v43, v45, 1.0
	v_fmac_f32_e32 v45, v53, v45
	v_mul_f32_e32 v53, v46, v45
	v_fma_f32 v55, -v43, v53, v46
	v_fmac_f32_e32 v53, v55, v45
	v_fma_f32 v43, -v43, v53, v46
	v_div_fmas_f32 v43, v43, v45, v53
	v_div_fixup_f32 v8, v43, s70, v8
	v_mul_f32_e32 v8, v8, v9
	v_fma_mixlo_f16 v43, v8, v40, v52 op_sel_hi:[0,1,1]
.LBB36_116:                             ;   in Loop: Header=BB36_85 Depth=2
	s_or_b64 exec, exec, s[80:81]
	s_cbranch_execnz .LBB36_118
.LBB36_117:                             ;   in Loop: Header=BB36_85 Depth=2
	v_bfe_i32 v6, v6, 0, 8
	v_cvt_f32_i32_sdwa v6, sext(v6) dst_sel:DWORD dst_unused:UNUSED_PAD src0_sel:WORD_0
	v_fma_mixlo_f16 v43, v6, v40, v52 op_sel_hi:[0,1,1]
.LBB36_118:                             ;   in Loop: Header=BB36_85 Depth=2
	s_and_b64 vcc, exec, s[4:5]
	v_lshrrev_b32_e32 v6, 16, v7
	s_cbranch_vccnz .LBB36_276
; %bb.119:                              ;   in Loop: Header=BB36_85 Depth=2
	v_cmp_ne_u16_sdwa s[80:81], v6, v15 src0_sel:BYTE_0 src1_sel:DWORD
	v_cmp_neq_f16_e32 vcc, 0, v40
	s_and_b64 s[88:89], s[80:81], vcc
	v_mov_b32_e32 v45, v49
	s_and_saveexec_b64 s[80:81], s[88:89]
	s_cbranch_execz .LBB36_121
; %bb.120:                              ;   in Loop: Header=BB36_85 Depth=2
	ds_read_u16 v8, v12 offset:12
	v_bfe_i32 v9, v6, 0, 8
	v_cvt_f32_i32_sdwa v9, sext(v9) dst_sel:DWORD dst_unused:UNUSED_PAD src0_sel:WORD_0
	s_waitcnt lgkmcnt(0)
	v_cvt_f32_f16_e32 v8, v8
	v_div_scale_f32 v45, s[88:89], s70, s70, v8
	v_rcp_f32_e32 v46, v45
	v_div_scale_f32 v52, vcc, v8, s70, v8
	v_fma_f32 v53, -v45, v46, 1.0
	v_fmac_f32_e32 v46, v53, v46
	v_mul_f32_e32 v53, v52, v46
	v_fma_f32 v55, -v45, v53, v52
	v_fmac_f32_e32 v53, v55, v46
	v_fma_f32 v45, -v45, v53, v52
	v_div_fmas_f32 v45, v45, v46, v53
	v_div_fixup_f32 v8, v45, s70, v8
	v_mul_f32_e32 v8, v8, v9
	v_fma_mixlo_f16 v45, v8, v40, v49 op_sel_hi:[0,1,1]
.LBB36_121:                             ;   in Loop: Header=BB36_85 Depth=2
	s_or_b64 exec, exec, s[80:81]
	s_cbranch_execnz .LBB36_123
.LBB36_122:                             ;   in Loop: Header=BB36_85 Depth=2
	v_bfe_i32 v6, v6, 0, 8
	v_cvt_f32_i32_sdwa v6, sext(v6) dst_sel:DWORD dst_unused:UNUSED_PAD src0_sel:WORD_0
	v_fma_mixlo_f16 v45, v6, v40, v49 op_sel_hi:[0,1,1]
.LBB36_123:                             ;   in Loop: Header=BB36_85 Depth=2
	s_and_b64 vcc, exec, s[4:5]
	v_lshrrev_b32_e32 v6, 24, v7
	s_cbranch_vccnz .LBB36_277
; %bb.124:                              ;   in Loop: Header=BB36_85 Depth=2
	v_cmp_ne_u16_e32 vcc, 0, v6
	v_cmp_neq_f16_e64 s[80:81], 0, v40
	s_and_b64 s[88:89], vcc, s[80:81]
	v_mov_b32_e32 v46, v47
	s_and_saveexec_b64 s[80:81], s[88:89]
	s_cbranch_execz .LBB36_126
; %bb.125:                              ;   in Loop: Header=BB36_85 Depth=2
	ds_read_u16 v7, v12 offset:14
	v_bfe_i32 v8, v6, 0, 8
	v_cvt_f32_i32_sdwa v8, sext(v8) dst_sel:DWORD dst_unused:UNUSED_PAD src0_sel:WORD_0
	s_waitcnt lgkmcnt(0)
	v_cvt_f32_f16_e32 v7, v7
	v_div_scale_f32 v9, s[88:89], s70, s70, v7
	v_rcp_f32_e32 v46, v9
	v_div_scale_f32 v49, vcc, v7, s70, v7
	v_fma_f32 v52, -v9, v46, 1.0
	v_fmac_f32_e32 v46, v52, v46
	v_mul_f32_e32 v52, v49, v46
	v_fma_f32 v53, -v9, v52, v49
	v_fmac_f32_e32 v52, v53, v46
	v_fma_f32 v9, -v9, v52, v49
	v_div_fmas_f32 v9, v9, v46, v52
	v_div_fixup_f32 v7, v9, s70, v7
	v_mul_f32_e32 v7, v7, v8
	v_fma_mixlo_f16 v46, v7, v40, v47 op_sel_hi:[0,1,1]
.LBB36_126:                             ;   in Loop: Header=BB36_85 Depth=2
	s_or_b64 exec, exec, s[80:81]
	s_cbranch_execnz .LBB36_128
.LBB36_127:                             ;   in Loop: Header=BB36_85 Depth=2
	v_bfe_i32 v6, v6, 0, 8
	v_cvt_f32_i32_sdwa v6, sext(v6) dst_sel:DWORD dst_unused:UNUSED_PAD src0_sel:WORD_0
	v_fma_mixlo_f16 v46, v6, v40, v47 op_sel_hi:[0,1,1]
.LBB36_128:                             ;   in Loop: Header=BB36_85 Depth=2
	s_and_saveexec_b64 s[96:97], s[18:19]
	s_cbranch_execz .LBB36_83
; %bb.129:                              ;   in Loop: Header=BB36_85 Depth=2
                                        ; implicit-def: $vgpr6_vgpr7
	s_and_saveexec_b64 s[80:81], s[8:9]
	s_xor_b64 s[80:81], exec, s[80:81]
	s_cbranch_execnz .LBB36_278
; %bb.130:                              ;   in Loop: Header=BB36_85 Depth=2
	s_andn2_saveexec_b64 s[80:81], s[80:81]
	s_cbranch_execnz .LBB36_291
.LBB36_131:                             ;   in Loop: Header=BB36_85 Depth=2
	s_or_b64 exec, exec, s[80:81]
	s_and_b64 vcc, exec, s[4:5]
	s_cbranch_vccnz .LBB36_292
.LBB36_132:                             ;   in Loop: Header=BB36_85 Depth=2
	s_waitcnt vmcnt(0)
	v_cmp_ne_u16_sdwa s[80:81], v6, v15 src0_sel:BYTE_0 src1_sel:DWORD
	v_cmp_neq_f16_e32 vcc, 0, v40
	s_and_b64 s[88:89], s[80:81], vcc
	v_mov_b32_e32 v47, v63
	s_and_saveexec_b64 s[80:81], s[88:89]
	s_cbranch_execz .LBB36_134
; %bb.133:                              ;   in Loop: Header=BB36_85 Depth=2
	ds_read_u16 v8, v12 offset:16
	v_bfe_i32 v9, v6, 0, 8
	v_cvt_f32_i32_sdwa v9, sext(v9) dst_sel:DWORD dst_unused:UNUSED_PAD src0_sel:WORD_0
	s_waitcnt lgkmcnt(0)
	v_cvt_f32_f16_e32 v8, v8
	v_div_scale_f32 v47, s[88:89], s70, s70, v8
	v_rcp_f32_e32 v49, v47
	v_div_scale_f32 v52, vcc, v8, s70, v8
	v_fma_f32 v53, -v47, v49, 1.0
	v_fmac_f32_e32 v49, v53, v49
	v_mul_f32_e32 v53, v52, v49
	v_fma_f32 v55, -v47, v53, v52
	v_fmac_f32_e32 v53, v55, v49
	v_fma_f32 v47, -v47, v53, v52
	v_div_fmas_f32 v47, v47, v49, v53
	v_div_fixup_f32 v8, v47, s70, v8
	v_mul_f32_e32 v8, v8, v9
	v_fma_mixlo_f16 v47, v8, v40, v63 op_sel_hi:[0,1,1]
.LBB36_134:                             ;   in Loop: Header=BB36_85 Depth=2
	s_or_b64 exec, exec, s[80:81]
	s_cbranch_execnz .LBB36_136
.LBB36_135:                             ;   in Loop: Header=BB36_85 Depth=2
	s_waitcnt vmcnt(0)
	v_bfe_i32 v8, v6, 0, 8
	v_cvt_f32_i32_sdwa v8, sext(v8) dst_sel:DWORD dst_unused:UNUSED_PAD src0_sel:WORD_0
	v_fma_mixlo_f16 v47, v8, v40, v63 op_sel_hi:[0,1,1]
.LBB36_136:                             ;   in Loop: Header=BB36_85 Depth=2
	s_and_b64 vcc, exec, s[4:5]
	s_waitcnt vmcnt(0)
	v_lshrrev_b32_e32 v8, 8, v6
	s_cbranch_vccnz .LBB36_295
; %bb.137:                              ;   in Loop: Header=BB36_85 Depth=2
	v_cmp_ne_u16_sdwa s[80:81], v8, v15 src0_sel:BYTE_0 src1_sel:DWORD
	v_cmp_neq_f16_e32 vcc, 0, v40
	s_and_b64 s[88:89], s[80:81], vcc
	v_mov_b32_e32 v49, v62
	s_and_saveexec_b64 s[80:81], s[88:89]
	s_cbranch_execz .LBB36_139
; %bb.138:                              ;   in Loop: Header=BB36_85 Depth=2
	ds_read_u16 v9, v12 offset:18
	v_bfe_i32 v49, v8, 0, 8
	v_cvt_f32_i32_sdwa v49, sext(v49) dst_sel:DWORD dst_unused:UNUSED_PAD src0_sel:WORD_0
	s_waitcnt lgkmcnt(0)
	v_cvt_f32_f16_e32 v9, v9
	v_div_scale_f32 v52, s[88:89], s70, s70, v9
	v_rcp_f32_e32 v53, v52
	v_div_scale_f32 v55, vcc, v9, s70, v9
	v_fma_f32 v57, -v52, v53, 1.0
	v_fmac_f32_e32 v53, v57, v53
	v_mul_f32_e32 v57, v55, v53
	v_fma_f32 v58, -v52, v57, v55
	v_fmac_f32_e32 v57, v58, v53
	v_fma_f32 v52, -v52, v57, v55
	v_div_fmas_f32 v52, v52, v53, v57
	v_div_fixup_f32 v9, v52, s70, v9
	v_mul_f32_e32 v9, v9, v49
	v_fma_mixlo_f16 v49, v9, v40, v62 op_sel_hi:[0,1,1]
.LBB36_139:                             ;   in Loop: Header=BB36_85 Depth=2
	s_or_b64 exec, exec, s[80:81]
	s_cbranch_execnz .LBB36_141
.LBB36_140:                             ;   in Loop: Header=BB36_85 Depth=2
	v_bfe_i32 v8, v8, 0, 8
	v_cvt_f32_i32_sdwa v8, sext(v8) dst_sel:DWORD dst_unused:UNUSED_PAD src0_sel:WORD_0
	v_fma_mixlo_f16 v49, v8, v40, v62 op_sel_hi:[0,1,1]
.LBB36_141:                             ;   in Loop: Header=BB36_85 Depth=2
	s_and_b64 vcc, exec, s[4:5]
	v_lshrrev_b32_e32 v8, 16, v6
	s_cbranch_vccnz .LBB36_296
; %bb.142:                              ;   in Loop: Header=BB36_85 Depth=2
	v_cmp_ne_u16_sdwa s[80:81], v8, v15 src0_sel:BYTE_0 src1_sel:DWORD
	v_cmp_neq_f16_e32 vcc, 0, v40
	s_and_b64 s[88:89], s[80:81], vcc
	v_mov_b32_e32 v52, v61
	s_and_saveexec_b64 s[80:81], s[88:89]
	s_cbranch_execz .LBB36_144
; %bb.143:                              ;   in Loop: Header=BB36_85 Depth=2
	ds_read_u16 v9, v12 offset:20
	v_bfe_i32 v52, v8, 0, 8
	v_cvt_f32_i32_sdwa v52, sext(v52) dst_sel:DWORD dst_unused:UNUSED_PAD src0_sel:WORD_0
	s_waitcnt lgkmcnt(0)
	v_cvt_f32_f16_e32 v9, v9
	v_div_scale_f32 v53, s[88:89], s70, s70, v9
	v_rcp_f32_e32 v55, v53
	v_div_scale_f32 v57, vcc, v9, s70, v9
	v_fma_f32 v58, -v53, v55, 1.0
	v_fmac_f32_e32 v55, v58, v55
	v_mul_f32_e32 v58, v57, v55
	v_fma_f32 v60, -v53, v58, v57
	v_fmac_f32_e32 v58, v60, v55
	v_fma_f32 v53, -v53, v58, v57
	v_div_fmas_f32 v53, v53, v55, v58
	v_div_fixup_f32 v9, v53, s70, v9
	v_mul_f32_e32 v9, v9, v52
	v_fma_mixlo_f16 v52, v9, v40, v61 op_sel_hi:[0,1,1]
.LBB36_144:                             ;   in Loop: Header=BB36_85 Depth=2
	s_or_b64 exec, exec, s[80:81]
	s_cbranch_execnz .LBB36_146
.LBB36_145:                             ;   in Loop: Header=BB36_85 Depth=2
	v_bfe_i32 v8, v8, 0, 8
	v_cvt_f32_i32_sdwa v8, sext(v8) dst_sel:DWORD dst_unused:UNUSED_PAD src0_sel:WORD_0
	v_fma_mixlo_f16 v52, v8, v40, v61 op_sel_hi:[0,1,1]
.LBB36_146:                             ;   in Loop: Header=BB36_85 Depth=2
	s_and_b64 vcc, exec, s[4:5]
	s_cbranch_vccnz .LBB36_297
; %bb.147:                              ;   in Loop: Header=BB36_85 Depth=2
	v_lshrrev_b64 v[8:9], 24, v[6:7]
	v_cmp_ne_u16_sdwa s[80:81], v8, v15 src0_sel:BYTE_0 src1_sel:DWORD
	v_cmp_neq_f16_e32 vcc, 0, v40
	s_and_b64 s[88:89], s[80:81], vcc
	v_mov_b32_e32 v53, v59
	s_and_saveexec_b64 s[80:81], s[88:89]
	s_cbranch_execz .LBB36_149
; %bb.148:                              ;   in Loop: Header=BB36_85 Depth=2
	ds_read_u16 v9, v12 offset:22
	v_bfe_i32 v8, v8, 0, 8
	v_cvt_f32_i32_sdwa v8, sext(v8) dst_sel:DWORD dst_unused:UNUSED_PAD src0_sel:WORD_0
	s_waitcnt lgkmcnt(0)
	v_cvt_f32_f16_e32 v9, v9
	v_div_scale_f32 v53, s[88:89], s70, s70, v9
	v_rcp_f32_e32 v55, v53
	v_div_scale_f32 v57, vcc, v9, s70, v9
	v_fma_f32 v58, -v53, v55, 1.0
	v_fmac_f32_e32 v55, v58, v55
	v_mul_f32_e32 v58, v57, v55
	v_fma_f32 v60, -v53, v58, v57
	v_fmac_f32_e32 v58, v60, v55
	v_fma_f32 v53, -v53, v58, v57
	v_div_fmas_f32 v53, v53, v55, v58
	v_div_fixup_f32 v9, v53, s70, v9
	v_mul_f32_e32 v8, v9, v8
	v_fma_mixlo_f16 v53, v8, v40, v59 op_sel_hi:[0,1,1]
.LBB36_149:                             ;   in Loop: Header=BB36_85 Depth=2
	s_or_b64 exec, exec, s[80:81]
	s_cbranch_execnz .LBB36_151
.LBB36_150:                             ;   in Loop: Header=BB36_85 Depth=2
	v_lshrrev_b32_e32 v6, 24, v6
	v_bfe_i32 v6, v6, 0, 8
	v_cvt_f32_i32_sdwa v6, sext(v6) dst_sel:DWORD dst_unused:UNUSED_PAD src0_sel:WORD_0
	v_fma_mixlo_f16 v53, v6, v40, v59 op_sel_hi:[0,1,1]
.LBB36_151:                             ;   in Loop: Header=BB36_85 Depth=2
	s_and_b64 vcc, exec, s[4:5]
	s_cbranch_vccnz .LBB36_298
; %bb.152:                              ;   in Loop: Header=BB36_85 Depth=2
	v_cmp_ne_u16_sdwa s[80:81], v7, v15 src0_sel:BYTE_0 src1_sel:DWORD
	v_cmp_neq_f16_e32 vcc, 0, v40
	s_and_b64 s[88:89], s[80:81], vcc
	v_mov_b32_e32 v55, v56
	s_and_saveexec_b64 s[80:81], s[88:89]
	s_cbranch_execz .LBB36_154
; %bb.153:                              ;   in Loop: Header=BB36_85 Depth=2
	ds_read_u16 v6, v12 offset:24
	v_bfe_i32 v8, v7, 0, 8
	v_cvt_f32_i32_sdwa v8, sext(v8) dst_sel:DWORD dst_unused:UNUSED_PAD src0_sel:WORD_0
	s_waitcnt lgkmcnt(0)
	v_cvt_f32_f16_e32 v6, v6
	v_div_scale_f32 v9, s[88:89], s70, s70, v6
	v_rcp_f32_e32 v55, v9
	v_div_scale_f32 v57, vcc, v6, s70, v6
	v_fma_f32 v58, -v9, v55, 1.0
	v_fmac_f32_e32 v55, v58, v55
	v_mul_f32_e32 v58, v57, v55
	v_fma_f32 v59, -v9, v58, v57
	v_fmac_f32_e32 v58, v59, v55
	v_fma_f32 v9, -v9, v58, v57
	v_div_fmas_f32 v9, v9, v55, v58
	v_div_fixup_f32 v6, v9, s70, v6
	v_mul_f32_e32 v6, v6, v8
	v_fma_mixlo_f16 v55, v6, v40, v56 op_sel_hi:[0,1,1]
.LBB36_154:                             ;   in Loop: Header=BB36_85 Depth=2
	s_or_b64 exec, exec, s[80:81]
	s_cbranch_execnz .LBB36_156
.LBB36_155:                             ;   in Loop: Header=BB36_85 Depth=2
	v_bfe_i32 v6, v7, 0, 8
	v_cvt_f32_i32_sdwa v6, sext(v6) dst_sel:DWORD dst_unused:UNUSED_PAD src0_sel:WORD_0
	v_fma_mixlo_f16 v55, v6, v40, v56 op_sel_hi:[0,1,1]
.LBB36_156:                             ;   in Loop: Header=BB36_85 Depth=2
	s_and_b64 vcc, exec, s[4:5]
	v_lshrrev_b32_e32 v6, 8, v7
	s_cbranch_vccnz .LBB36_299
; %bb.157:                              ;   in Loop: Header=BB36_85 Depth=2
	v_cmp_ne_u16_sdwa s[80:81], v6, v15 src0_sel:BYTE_0 src1_sel:DWORD
	v_cmp_neq_f16_e32 vcc, 0, v40
	s_and_b64 s[88:89], s[80:81], vcc
	v_mov_b32_e32 v57, v54
	s_and_saveexec_b64 s[80:81], s[88:89]
	s_cbranch_execz .LBB36_159
; %bb.158:                              ;   in Loop: Header=BB36_85 Depth=2
	ds_read_u16 v8, v12 offset:26
	v_bfe_i32 v9, v6, 0, 8
	v_cvt_f32_i32_sdwa v9, sext(v9) dst_sel:DWORD dst_unused:UNUSED_PAD src0_sel:WORD_0
	s_waitcnt lgkmcnt(0)
	v_cvt_f32_f16_e32 v8, v8
	v_div_scale_f32 v56, s[88:89], s70, s70, v8
	v_rcp_f32_e32 v57, v56
	v_div_scale_f32 v58, vcc, v8, s70, v8
	v_fma_f32 v59, -v56, v57, 1.0
	v_fmac_f32_e32 v57, v59, v57
	v_mul_f32_e32 v59, v58, v57
	v_fma_f32 v60, -v56, v59, v58
	v_fmac_f32_e32 v59, v60, v57
	v_fma_f32 v56, -v56, v59, v58
	v_div_fmas_f32 v56, v56, v57, v59
	v_div_fixup_f32 v8, v56, s70, v8
	v_mul_f32_e32 v8, v8, v9
	v_fma_mixlo_f16 v57, v8, v40, v54 op_sel_hi:[0,1,1]
.LBB36_159:                             ;   in Loop: Header=BB36_85 Depth=2
	s_or_b64 exec, exec, s[80:81]
	s_cbranch_execnz .LBB36_161
.LBB36_160:                             ;   in Loop: Header=BB36_85 Depth=2
	v_bfe_i32 v6, v6, 0, 8
	v_cvt_f32_i32_sdwa v6, sext(v6) dst_sel:DWORD dst_unused:UNUSED_PAD src0_sel:WORD_0
	v_fma_mixlo_f16 v57, v6, v40, v54 op_sel_hi:[0,1,1]
.LBB36_161:                             ;   in Loop: Header=BB36_85 Depth=2
	s_and_b64 vcc, exec, s[4:5]
	v_lshrrev_b32_e32 v6, 16, v7
	s_cbranch_vccnz .LBB36_300
; %bb.162:                              ;   in Loop: Header=BB36_85 Depth=2
	v_cmp_ne_u16_sdwa s[80:81], v6, v15 src0_sel:BYTE_0 src1_sel:DWORD
	v_cmp_neq_f16_e32 vcc, 0, v40
	s_and_b64 s[88:89], s[80:81], vcc
	v_mov_b32_e32 v58, v51
	s_and_saveexec_b64 s[80:81], s[88:89]
	s_cbranch_execz .LBB36_164
; %bb.163:                              ;   in Loop: Header=BB36_85 Depth=2
	ds_read_u16 v8, v12 offset:28
	v_bfe_i32 v9, v6, 0, 8
	v_cvt_f32_i32_sdwa v9, sext(v9) dst_sel:DWORD dst_unused:UNUSED_PAD src0_sel:WORD_0
	s_waitcnt lgkmcnt(0)
	v_cvt_f32_f16_e32 v8, v8
	v_div_scale_f32 v54, s[88:89], s70, s70, v8
	v_rcp_f32_e32 v56, v54
	v_div_scale_f32 v58, vcc, v8, s70, v8
	v_fma_f32 v59, -v54, v56, 1.0
	v_fmac_f32_e32 v56, v59, v56
	v_mul_f32_e32 v59, v58, v56
	v_fma_f32 v60, -v54, v59, v58
	v_fmac_f32_e32 v59, v60, v56
	v_fma_f32 v54, -v54, v59, v58
	v_div_fmas_f32 v54, v54, v56, v59
	v_div_fixup_f32 v8, v54, s70, v8
	v_mul_f32_e32 v8, v8, v9
	v_fma_mixlo_f16 v58, v8, v40, v51 op_sel_hi:[0,1,1]
.LBB36_164:                             ;   in Loop: Header=BB36_85 Depth=2
	s_or_b64 exec, exec, s[80:81]
	s_cbranch_execnz .LBB36_166
.LBB36_165:                             ;   in Loop: Header=BB36_85 Depth=2
	v_bfe_i32 v6, v6, 0, 8
	v_cvt_f32_i32_sdwa v6, sext(v6) dst_sel:DWORD dst_unused:UNUSED_PAD src0_sel:WORD_0
	v_fma_mixlo_f16 v58, v6, v40, v51 op_sel_hi:[0,1,1]
.LBB36_166:                             ;   in Loop: Header=BB36_85 Depth=2
	s_and_b64 vcc, exec, s[4:5]
	v_lshrrev_b32_e32 v6, 24, v7
	s_cbranch_vccnz .LBB36_301
; %bb.167:                              ;   in Loop: Header=BB36_85 Depth=2
	v_cmp_ne_u16_e32 vcc, 0, v6
	v_cmp_neq_f16_e64 s[80:81], 0, v40
	s_and_b64 s[88:89], vcc, s[80:81]
	v_mov_b32_e32 v60, v48
	s_and_saveexec_b64 s[80:81], s[88:89]
	s_cbranch_execz .LBB36_169
; %bb.168:                              ;   in Loop: Header=BB36_85 Depth=2
	ds_read_u16 v7, v12 offset:30
	v_bfe_i32 v8, v6, 0, 8
	v_cvt_f32_i32_sdwa v8, sext(v8) dst_sel:DWORD dst_unused:UNUSED_PAD src0_sel:WORD_0
	s_waitcnt lgkmcnt(0)
	v_cvt_f32_f16_e32 v7, v7
	v_div_scale_f32 v9, s[88:89], s70, s70, v7
	v_rcp_f32_e32 v51, v9
	v_div_scale_f32 v54, vcc, v7, s70, v7
	v_fma_f32 v56, -v9, v51, 1.0
	v_fmac_f32_e32 v51, v56, v51
	v_mul_f32_e32 v56, v54, v51
	v_fma_f32 v59, -v9, v56, v54
	v_fmac_f32_e32 v56, v59, v51
	v_fma_f32 v9, -v9, v56, v54
	v_div_fmas_f32 v9, v9, v51, v56
	v_div_fixup_f32 v7, v9, s70, v7
	v_mul_f32_e32 v7, v7, v8
	v_fma_mixlo_f16 v60, v7, v40, v48 op_sel_hi:[0,1,1]
.LBB36_169:                             ;   in Loop: Header=BB36_85 Depth=2
	s_or_b64 exec, exec, s[80:81]
	s_cbranch_execnz .LBB36_171
.LBB36_170:                             ;   in Loop: Header=BB36_85 Depth=2
	v_bfe_i32 v6, v6, 0, 8
	v_cvt_f32_i32_sdwa v6, sext(v6) dst_sel:DWORD dst_unused:UNUSED_PAD src0_sel:WORD_0
	v_fma_mixlo_f16 v60, v6, v40, v48 op_sel_hi:[0,1,1]
.LBB36_171:                             ;   in Loop: Header=BB36_85 Depth=2
	s_and_saveexec_b64 s[98:99], s[6:7]
	s_cbranch_execz .LBB36_82
; %bb.172:                              ;   in Loop: Header=BB36_85 Depth=2
                                        ; implicit-def: $vgpr6_vgpr7
	s_and_saveexec_b64 s[80:81], s[12:13]
	s_xor_b64 s[80:81], exec, s[80:81]
	s_cbranch_execnz .LBB36_302
; %bb.173:                              ;   in Loop: Header=BB36_85 Depth=2
	s_andn2_saveexec_b64 s[80:81], s[80:81]
	s_cbranch_execnz .LBB36_315
.LBB36_174:                             ;   in Loop: Header=BB36_85 Depth=2
	s_or_b64 exec, exec, s[80:81]
	s_and_b64 vcc, exec, s[4:5]
	s_cbranch_vccnz .LBB36_316
.LBB36_175:                             ;   in Loop: Header=BB36_85 Depth=2
	s_waitcnt vmcnt(0)
	v_cmp_ne_u16_sdwa s[80:81], v6, v15 src0_sel:BYTE_0 src1_sel:DWORD
	v_cmp_neq_f16_e32 vcc, 0, v40
	s_and_b64 s[88:89], s[80:81], vcc
	v_mov_b32_e32 v48, v44
	s_and_saveexec_b64 s[80:81], s[88:89]
	s_cbranch_execz .LBB36_177
; %bb.176:                              ;   in Loop: Header=BB36_85 Depth=2
	ds_read_u16 v8, v12 offset:32
	v_bfe_i32 v9, v6, 0, 8
	v_cvt_f32_i32_sdwa v9, sext(v9) dst_sel:DWORD dst_unused:UNUSED_PAD src0_sel:WORD_0
	s_waitcnt lgkmcnt(0)
	v_cvt_f32_f16_e32 v8, v8
	v_div_scale_f32 v48, s[88:89], s70, s70, v8
	v_rcp_f32_e32 v51, v48
	v_div_scale_f32 v54, vcc, v8, s70, v8
	v_fma_f32 v56, -v48, v51, 1.0
	v_fmac_f32_e32 v51, v56, v51
	v_mul_f32_e32 v56, v54, v51
	v_fma_f32 v59, -v48, v56, v54
	v_fmac_f32_e32 v56, v59, v51
	v_fma_f32 v48, -v48, v56, v54
	v_div_fmas_f32 v48, v48, v51, v56
	v_div_fixup_f32 v8, v48, s70, v8
	v_mul_f32_e32 v8, v8, v9
	v_fma_mixlo_f16 v48, v8, v40, v44 op_sel_hi:[0,1,1]
.LBB36_177:                             ;   in Loop: Header=BB36_85 Depth=2
	s_or_b64 exec, exec, s[80:81]
	s_cbranch_execnz .LBB36_179
.LBB36_178:                             ;   in Loop: Header=BB36_85 Depth=2
	s_waitcnt vmcnt(0)
	v_bfe_i32 v8, v6, 0, 8
	v_cvt_f32_i32_sdwa v8, sext(v8) dst_sel:DWORD dst_unused:UNUSED_PAD src0_sel:WORD_0
	v_fma_mixlo_f16 v48, v8, v40, v44 op_sel_hi:[0,1,1]
.LBB36_179:                             ;   in Loop: Header=BB36_85 Depth=2
	s_and_b64 vcc, exec, s[4:5]
	s_waitcnt vmcnt(0)
	v_lshrrev_b32_e32 v8, 8, v6
	s_cbranch_vccnz .LBB36_319
; %bb.180:                              ;   in Loop: Header=BB36_85 Depth=2
	v_cmp_ne_u16_sdwa s[80:81], v8, v15 src0_sel:BYTE_0 src1_sel:DWORD
	v_cmp_neq_f16_e32 vcc, 0, v40
	s_and_b64 s[88:89], s[80:81], vcc
	v_mov_b32_e32 v51, v42
	s_and_saveexec_b64 s[80:81], s[88:89]
	s_cbranch_execz .LBB36_182
; %bb.181:                              ;   in Loop: Header=BB36_85 Depth=2
	ds_read_u16 v9, v12 offset:34
	v_bfe_i32 v44, v8, 0, 8
	v_cvt_f32_i32_sdwa v44, sext(v44) dst_sel:DWORD dst_unused:UNUSED_PAD src0_sel:WORD_0
	s_waitcnt lgkmcnt(0)
	v_cvt_f32_f16_e32 v9, v9
	v_div_scale_f32 v51, s[88:89], s70, s70, v9
	v_rcp_f32_e32 v54, v51
	v_div_scale_f32 v56, vcc, v9, s70, v9
	v_fma_f32 v59, -v51, v54, 1.0
	v_fmac_f32_e32 v54, v59, v54
	v_mul_f32_e32 v59, v56, v54
	v_fma_f32 v61, -v51, v59, v56
	v_fmac_f32_e32 v59, v61, v54
	v_fma_f32 v51, -v51, v59, v56
	v_div_fmas_f32 v51, v51, v54, v59
	v_div_fixup_f32 v9, v51, s70, v9
	v_mul_f32_e32 v9, v9, v44
	v_fma_mixlo_f16 v51, v9, v40, v42 op_sel_hi:[0,1,1]
.LBB36_182:                             ;   in Loop: Header=BB36_85 Depth=2
	s_or_b64 exec, exec, s[80:81]
	s_cbranch_execnz .LBB36_184
.LBB36_183:                             ;   in Loop: Header=BB36_85 Depth=2
	v_bfe_i32 v8, v8, 0, 8
	v_cvt_f32_i32_sdwa v8, sext(v8) dst_sel:DWORD dst_unused:UNUSED_PAD src0_sel:WORD_0
	v_fma_mixlo_f16 v51, v8, v40, v42 op_sel_hi:[0,1,1]
.LBB36_184:                             ;   in Loop: Header=BB36_85 Depth=2
	s_and_b64 vcc, exec, s[4:5]
	v_lshrrev_b32_e32 v8, 16, v6
	s_cbranch_vccnz .LBB36_320
; %bb.185:                              ;   in Loop: Header=BB36_85 Depth=2
	v_cmp_ne_u16_sdwa s[80:81], v8, v15 src0_sel:BYTE_0 src1_sel:DWORD
	v_cmp_neq_f16_e32 vcc, 0, v40
	s_and_b64 s[88:89], s[80:81], vcc
	v_mov_b32_e32 v54, v39
	s_and_saveexec_b64 s[80:81], s[88:89]
	s_cbranch_execz .LBB36_187
; %bb.186:                              ;   in Loop: Header=BB36_85 Depth=2
	ds_read_u16 v9, v12 offset:36
	v_bfe_i32 v42, v8, 0, 8
	v_cvt_f32_i32_sdwa v42, sext(v42) dst_sel:DWORD dst_unused:UNUSED_PAD src0_sel:WORD_0
	s_waitcnt lgkmcnt(0)
	v_cvt_f32_f16_e32 v9, v9
	v_div_scale_f32 v44, s[88:89], s70, s70, v9
	v_rcp_f32_e32 v54, v44
	v_div_scale_f32 v56, vcc, v9, s70, v9
	v_fma_f32 v59, -v44, v54, 1.0
	v_fmac_f32_e32 v54, v59, v54
	v_mul_f32_e32 v59, v56, v54
	v_fma_f32 v61, -v44, v59, v56
	v_fmac_f32_e32 v59, v61, v54
	v_fma_f32 v44, -v44, v59, v56
	v_div_fmas_f32 v44, v44, v54, v59
	v_div_fixup_f32 v9, v44, s70, v9
	v_mul_f32_e32 v9, v9, v42
	v_fma_mixlo_f16 v54, v9, v40, v39 op_sel_hi:[0,1,1]
.LBB36_187:                             ;   in Loop: Header=BB36_85 Depth=2
	s_or_b64 exec, exec, s[80:81]
	s_cbranch_execnz .LBB36_189
.LBB36_188:                             ;   in Loop: Header=BB36_85 Depth=2
	v_bfe_i32 v8, v8, 0, 8
	v_cvt_f32_i32_sdwa v8, sext(v8) dst_sel:DWORD dst_unused:UNUSED_PAD src0_sel:WORD_0
	v_fma_mixlo_f16 v54, v8, v40, v39 op_sel_hi:[0,1,1]
.LBB36_189:                             ;   in Loop: Header=BB36_85 Depth=2
	s_and_b64 vcc, exec, s[4:5]
	s_cbranch_vccnz .LBB36_321
; %bb.190:                              ;   in Loop: Header=BB36_85 Depth=2
	v_lshrrev_b64 v[8:9], 24, v[6:7]
	v_cmp_ne_u16_sdwa s[80:81], v8, v15 src0_sel:BYTE_0 src1_sel:DWORD
	v_cmp_neq_f16_e32 vcc, 0, v40
	s_and_b64 s[88:89], s[80:81], vcc
	v_mov_b32_e32 v56, v36
	s_and_saveexec_b64 s[80:81], s[88:89]
	s_cbranch_execz .LBB36_192
; %bb.191:                              ;   in Loop: Header=BB36_85 Depth=2
	ds_read_u16 v9, v12 offset:38
	v_bfe_i32 v8, v8, 0, 8
	v_cvt_f32_i32_sdwa v8, sext(v8) dst_sel:DWORD dst_unused:UNUSED_PAD src0_sel:WORD_0
	s_waitcnt lgkmcnt(0)
	v_cvt_f32_f16_e32 v9, v9
	v_div_scale_f32 v39, s[88:89], s70, s70, v9
	v_rcp_f32_e32 v42, v39
	v_div_scale_f32 v44, vcc, v9, s70, v9
	v_fma_f32 v56, -v39, v42, 1.0
	v_fmac_f32_e32 v42, v56, v42
	v_mul_f32_e32 v56, v44, v42
	v_fma_f32 v59, -v39, v56, v44
	v_fmac_f32_e32 v56, v59, v42
	v_fma_f32 v39, -v39, v56, v44
	v_div_fmas_f32 v39, v39, v42, v56
	v_div_fixup_f32 v9, v39, s70, v9
	v_mul_f32_e32 v8, v9, v8
	v_fma_mixlo_f16 v56, v8, v40, v36 op_sel_hi:[0,1,1]
.LBB36_192:                             ;   in Loop: Header=BB36_85 Depth=2
	s_or_b64 exec, exec, s[80:81]
	s_cbranch_execnz .LBB36_194
.LBB36_193:                             ;   in Loop: Header=BB36_85 Depth=2
	v_lshrrev_b32_e32 v6, 24, v6
	v_bfe_i32 v6, v6, 0, 8
	v_cvt_f32_i32_sdwa v6, sext(v6) dst_sel:DWORD dst_unused:UNUSED_PAD src0_sel:WORD_0
	v_fma_mixlo_f16 v56, v6, v40, v36 op_sel_hi:[0,1,1]
.LBB36_194:                             ;   in Loop: Header=BB36_85 Depth=2
	s_and_b64 vcc, exec, s[4:5]
	s_cbranch_vccnz .LBB36_322
; %bb.195:                              ;   in Loop: Header=BB36_85 Depth=2
	v_cmp_ne_u16_sdwa s[80:81], v7, v15 src0_sel:BYTE_0 src1_sel:DWORD
	v_cmp_neq_f16_e32 vcc, 0, v40
	s_and_b64 s[88:89], s[80:81], vcc
	v_mov_b32_e32 v59, v34
	s_and_saveexec_b64 s[80:81], s[88:89]
	s_cbranch_execz .LBB36_197
; %bb.196:                              ;   in Loop: Header=BB36_85 Depth=2
	ds_read_u16 v6, v12 offset:40
	v_bfe_i32 v8, v7, 0, 8
	v_cvt_f32_i32_sdwa v8, sext(v8) dst_sel:DWORD dst_unused:UNUSED_PAD src0_sel:WORD_0
	s_waitcnt lgkmcnt(0)
	v_cvt_f32_f16_e32 v6, v6
	v_div_scale_f32 v9, s[88:89], s70, s70, v6
	v_rcp_f32_e32 v36, v9
	v_div_scale_f32 v39, vcc, v6, s70, v6
	v_fma_f32 v42, -v9, v36, 1.0
	v_fmac_f32_e32 v36, v42, v36
	v_mul_f32_e32 v42, v39, v36
	v_fma_f32 v44, -v9, v42, v39
	v_fmac_f32_e32 v42, v44, v36
	v_fma_f32 v9, -v9, v42, v39
	v_div_fmas_f32 v9, v9, v36, v42
	v_div_fixup_f32 v6, v9, s70, v6
	v_mul_f32_e32 v6, v6, v8
	v_fma_mixlo_f16 v59, v6, v40, v34 op_sel_hi:[0,1,1]
.LBB36_197:                             ;   in Loop: Header=BB36_85 Depth=2
	s_or_b64 exec, exec, s[80:81]
	s_cbranch_execnz .LBB36_199
.LBB36_198:                             ;   in Loop: Header=BB36_85 Depth=2
	v_bfe_i32 v6, v7, 0, 8
	v_cvt_f32_i32_sdwa v6, sext(v6) dst_sel:DWORD dst_unused:UNUSED_PAD src0_sel:WORD_0
	v_fma_mixlo_f16 v59, v6, v40, v34 op_sel_hi:[0,1,1]
.LBB36_199:                             ;   in Loop: Header=BB36_85 Depth=2
	s_and_b64 vcc, exec, s[4:5]
	v_lshrrev_b32_e32 v6, 8, v7
	s_cbranch_vccnz .LBB36_323
; %bb.200:                              ;   in Loop: Header=BB36_85 Depth=2
	v_cmp_ne_u16_sdwa s[80:81], v6, v15 src0_sel:BYTE_0 src1_sel:DWORD
	v_cmp_neq_f16_e32 vcc, 0, v40
	s_and_b64 s[88:89], s[80:81], vcc
	v_mov_b32_e32 v61, v32
	s_and_saveexec_b64 s[80:81], s[88:89]
	s_cbranch_execz .LBB36_202
; %bb.201:                              ;   in Loop: Header=BB36_85 Depth=2
	ds_read_u16 v8, v12 offset:42
	v_bfe_i32 v9, v6, 0, 8
	v_cvt_f32_i32_sdwa v9, sext(v9) dst_sel:DWORD dst_unused:UNUSED_PAD src0_sel:WORD_0
	s_waitcnt lgkmcnt(0)
	v_cvt_f32_f16_e32 v8, v8
	v_div_scale_f32 v34, s[88:89], s70, s70, v8
	v_rcp_f32_e32 v36, v34
	v_div_scale_f32 v39, vcc, v8, s70, v8
	v_fma_f32 v42, -v34, v36, 1.0
	v_fmac_f32_e32 v36, v42, v36
	v_mul_f32_e32 v42, v39, v36
	v_fma_f32 v44, -v34, v42, v39
	v_fmac_f32_e32 v42, v44, v36
	v_fma_f32 v34, -v34, v42, v39
	v_div_fmas_f32 v34, v34, v36, v42
	v_div_fixup_f32 v8, v34, s70, v8
	v_mul_f32_e32 v8, v8, v9
	v_fma_mixlo_f16 v61, v8, v40, v32 op_sel_hi:[0,1,1]
.LBB36_202:                             ;   in Loop: Header=BB36_85 Depth=2
	s_or_b64 exec, exec, s[80:81]
	s_cbranch_execnz .LBB36_204
.LBB36_203:                             ;   in Loop: Header=BB36_85 Depth=2
	v_bfe_i32 v6, v6, 0, 8
	v_cvt_f32_i32_sdwa v6, sext(v6) dst_sel:DWORD dst_unused:UNUSED_PAD src0_sel:WORD_0
	v_fma_mixlo_f16 v61, v6, v40, v32 op_sel_hi:[0,1,1]
.LBB36_204:                             ;   in Loop: Header=BB36_85 Depth=2
	s_and_b64 vcc, exec, s[4:5]
	v_lshrrev_b32_e32 v6, 16, v7
	s_cbranch_vccnz .LBB36_324
; %bb.205:                              ;   in Loop: Header=BB36_85 Depth=2
	v_cmp_ne_u16_sdwa s[80:81], v6, v15 src0_sel:BYTE_0 src1_sel:DWORD
	v_cmp_neq_f16_e32 vcc, 0, v40
	s_and_b64 s[88:89], s[80:81], vcc
	v_mov_b32_e32 v62, v31
	s_and_saveexec_b64 s[80:81], s[88:89]
	s_cbranch_execz .LBB36_207
; %bb.206:                              ;   in Loop: Header=BB36_85 Depth=2
	ds_read_u16 v8, v12 offset:44
	v_bfe_i32 v9, v6, 0, 8
	v_cvt_f32_i32_sdwa v9, sext(v9) dst_sel:DWORD dst_unused:UNUSED_PAD src0_sel:WORD_0
	s_waitcnt lgkmcnt(0)
	v_cvt_f32_f16_e32 v8, v8
	v_div_scale_f32 v32, s[88:89], s70, s70, v8
	v_rcp_f32_e32 v34, v32
	v_div_scale_f32 v36, vcc, v8, s70, v8
	v_fma_f32 v39, -v32, v34, 1.0
	v_fmac_f32_e32 v34, v39, v34
	v_mul_f32_e32 v39, v36, v34
	v_fma_f32 v42, -v32, v39, v36
	v_fmac_f32_e32 v39, v42, v34
	v_fma_f32 v32, -v32, v39, v36
	v_div_fmas_f32 v32, v32, v34, v39
	v_div_fixup_f32 v8, v32, s70, v8
	v_mul_f32_e32 v8, v8, v9
	v_fma_mixlo_f16 v62, v8, v40, v31 op_sel_hi:[0,1,1]
.LBB36_207:                             ;   in Loop: Header=BB36_85 Depth=2
	s_or_b64 exec, exec, s[80:81]
	s_cbranch_execnz .LBB36_209
.LBB36_208:                             ;   in Loop: Header=BB36_85 Depth=2
	v_bfe_i32 v6, v6, 0, 8
	v_cvt_f32_i32_sdwa v6, sext(v6) dst_sel:DWORD dst_unused:UNUSED_PAD src0_sel:WORD_0
	v_fma_mixlo_f16 v62, v6, v40, v31 op_sel_hi:[0,1,1]
.LBB36_209:                             ;   in Loop: Header=BB36_85 Depth=2
	s_and_b64 vcc, exec, s[4:5]
	v_lshrrev_b32_e32 v6, 24, v7
	s_cbranch_vccnz .LBB36_325
; %bb.210:                              ;   in Loop: Header=BB36_85 Depth=2
	v_cmp_ne_u16_e32 vcc, 0, v6
	v_cmp_neq_f16_e64 s[80:81], 0, v40
	s_and_b64 s[88:89], vcc, s[80:81]
	v_mov_b32_e32 v63, v30
	s_and_saveexec_b64 s[80:81], s[88:89]
	s_cbranch_execz .LBB36_212
; %bb.211:                              ;   in Loop: Header=BB36_85 Depth=2
	ds_read_u16 v7, v12 offset:46
	v_bfe_i32 v8, v6, 0, 8
	v_cvt_f32_i32_sdwa v8, sext(v8) dst_sel:DWORD dst_unused:UNUSED_PAD src0_sel:WORD_0
	s_waitcnt lgkmcnt(0)
	v_cvt_f32_f16_e32 v7, v7
	v_div_scale_f32 v9, s[88:89], s70, s70, v7
	v_rcp_f32_e32 v31, v9
	v_div_scale_f32 v32, vcc, v7, s70, v7
	v_fma_f32 v34, -v9, v31, 1.0
	v_fmac_f32_e32 v31, v34, v31
	v_mul_f32_e32 v34, v32, v31
	v_fma_f32 v36, -v9, v34, v32
	v_fmac_f32_e32 v34, v36, v31
	v_fma_f32 v9, -v9, v34, v32
	v_div_fmas_f32 v9, v9, v31, v34
	v_div_fixup_f32 v7, v9, s70, v7
	v_mul_f32_e32 v7, v7, v8
	v_fma_mixlo_f16 v63, v7, v40, v30 op_sel_hi:[0,1,1]
.LBB36_212:                             ;   in Loop: Header=BB36_85 Depth=2
	s_or_b64 exec, exec, s[80:81]
	s_cbranch_execnz .LBB36_214
.LBB36_213:                             ;   in Loop: Header=BB36_85 Depth=2
	v_bfe_i32 v6, v6, 0, 8
	v_cvt_f32_i32_sdwa v6, sext(v6) dst_sel:DWORD dst_unused:UNUSED_PAD src0_sel:WORD_0
	v_fma_mixlo_f16 v63, v6, v40, v30 op_sel_hi:[0,1,1]
.LBB36_214:                             ;   in Loop: Header=BB36_85 Depth=2
	s_and_saveexec_b64 s[90:91], s[10:11]
	s_cbranch_execz .LBB36_81
; %bb.215:                              ;   in Loop: Header=BB36_85 Depth=2
                                        ; implicit-def: $vgpr6_vgpr7
	s_and_saveexec_b64 s[80:81], s[14:15]
	s_xor_b64 s[80:81], exec, s[80:81]
	s_cbranch_execnz .LBB36_326
; %bb.216:                              ;   in Loop: Header=BB36_85 Depth=2
	s_andn2_saveexec_b64 s[80:81], s[80:81]
	s_cbranch_execnz .LBB36_339
.LBB36_217:                             ;   in Loop: Header=BB36_85 Depth=2
	s_or_b64 exec, exec, s[80:81]
	s_and_b64 vcc, exec, s[4:5]
	s_cbranch_vccnz .LBB36_340
.LBB36_218:                             ;   in Loop: Header=BB36_85 Depth=2
	s_waitcnt vmcnt(0)
	v_cmp_ne_u16_sdwa s[80:81], v6, v15 src0_sel:BYTE_0 src1_sel:DWORD
	v_cmp_neq_f16_e32 vcc, 0, v40
	s_and_b64 s[88:89], s[80:81], vcc
	v_mov_b32_e32 v30, v27
	s_and_saveexec_b64 s[80:81], s[88:89]
	s_cbranch_execz .LBB36_220
; %bb.219:                              ;   in Loop: Header=BB36_85 Depth=2
	ds_read_u16 v8, v12 offset:48
	v_bfe_i32 v9, v6, 0, 8
	v_cvt_f32_i32_sdwa v9, sext(v9) dst_sel:DWORD dst_unused:UNUSED_PAD src0_sel:WORD_0
	s_waitcnt lgkmcnt(0)
	v_cvt_f32_f16_e32 v8, v8
	v_div_scale_f32 v30, s[88:89], s70, s70, v8
	v_rcp_f32_e32 v31, v30
	v_div_scale_f32 v32, vcc, v8, s70, v8
	v_fma_f32 v34, -v30, v31, 1.0
	v_fmac_f32_e32 v31, v34, v31
	v_mul_f32_e32 v34, v32, v31
	v_fma_f32 v36, -v30, v34, v32
	v_fmac_f32_e32 v34, v36, v31
	v_fma_f32 v30, -v30, v34, v32
	v_div_fmas_f32 v30, v30, v31, v34
	v_div_fixup_f32 v8, v30, s70, v8
	v_mul_f32_e32 v8, v8, v9
	v_fma_mixlo_f16 v30, v8, v40, v27 op_sel_hi:[0,1,1]
.LBB36_220:                             ;   in Loop: Header=BB36_85 Depth=2
	s_or_b64 exec, exec, s[80:81]
	s_cbranch_execnz .LBB36_222
.LBB36_221:                             ;   in Loop: Header=BB36_85 Depth=2
	s_waitcnt vmcnt(0)
	v_bfe_i32 v8, v6, 0, 8
	v_cvt_f32_i32_sdwa v8, sext(v8) dst_sel:DWORD dst_unused:UNUSED_PAD src0_sel:WORD_0
	v_fma_mixlo_f16 v30, v8, v40, v27 op_sel_hi:[0,1,1]
.LBB36_222:                             ;   in Loop: Header=BB36_85 Depth=2
	s_and_b64 vcc, exec, s[4:5]
	s_waitcnt vmcnt(0)
	v_lshrrev_b32_e32 v8, 8, v6
	s_cbranch_vccnz .LBB36_343
; %bb.223:                              ;   in Loop: Header=BB36_85 Depth=2
	v_cmp_ne_u16_sdwa s[80:81], v8, v15 src0_sel:BYTE_0 src1_sel:DWORD
	v_cmp_neq_f16_e32 vcc, 0, v40
	s_and_b64 s[88:89], s[80:81], vcc
	v_mov_b32_e32 v31, v26
	s_and_saveexec_b64 s[80:81], s[88:89]
	s_cbranch_execz .LBB36_225
; %bb.224:                              ;   in Loop: Header=BB36_85 Depth=2
	ds_read_u16 v9, v12 offset:50
	v_bfe_i32 v27, v8, 0, 8
	v_cvt_f32_i32_sdwa v27, sext(v27) dst_sel:DWORD dst_unused:UNUSED_PAD src0_sel:WORD_0
	s_waitcnt lgkmcnt(0)
	v_cvt_f32_f16_e32 v9, v9
	v_div_scale_f32 v31, s[88:89], s70, s70, v9
	v_rcp_f32_e32 v32, v31
	v_div_scale_f32 v34, vcc, v9, s70, v9
	v_fma_f32 v36, -v31, v32, 1.0
	v_fmac_f32_e32 v32, v36, v32
	v_mul_f32_e32 v36, v34, v32
	v_fma_f32 v39, -v31, v36, v34
	v_fmac_f32_e32 v36, v39, v32
	v_fma_f32 v31, -v31, v36, v34
	v_div_fmas_f32 v31, v31, v32, v36
	v_div_fixup_f32 v9, v31, s70, v9
	v_mul_f32_e32 v9, v9, v27
	v_fma_mixlo_f16 v31, v9, v40, v26 op_sel_hi:[0,1,1]
.LBB36_225:                             ;   in Loop: Header=BB36_85 Depth=2
	s_or_b64 exec, exec, s[80:81]
	s_cbranch_execnz .LBB36_227
.LBB36_226:                             ;   in Loop: Header=BB36_85 Depth=2
	v_bfe_i32 v8, v8, 0, 8
	v_cvt_f32_i32_sdwa v8, sext(v8) dst_sel:DWORD dst_unused:UNUSED_PAD src0_sel:WORD_0
	v_fma_mixlo_f16 v31, v8, v40, v26 op_sel_hi:[0,1,1]
.LBB36_227:                             ;   in Loop: Header=BB36_85 Depth=2
	s_and_b64 vcc, exec, s[4:5]
	v_lshrrev_b32_e32 v8, 16, v6
	s_cbranch_vccnz .LBB36_344
; %bb.228:                              ;   in Loop: Header=BB36_85 Depth=2
	v_cmp_ne_u16_sdwa s[80:81], v8, v15 src0_sel:BYTE_0 src1_sel:DWORD
	v_cmp_neq_f16_e32 vcc, 0, v40
	s_and_b64 s[88:89], s[80:81], vcc
	v_mov_b32_e32 v32, v24
	s_and_saveexec_b64 s[80:81], s[88:89]
	s_cbranch_execz .LBB36_230
; %bb.229:                              ;   in Loop: Header=BB36_85 Depth=2
	ds_read_u16 v9, v12 offset:52
	v_bfe_i32 v26, v8, 0, 8
	v_cvt_f32_i32_sdwa v26, sext(v26) dst_sel:DWORD dst_unused:UNUSED_PAD src0_sel:WORD_0
	s_waitcnt lgkmcnt(0)
	v_cvt_f32_f16_e32 v9, v9
	v_div_scale_f32 v27, s[88:89], s70, s70, v9
	v_rcp_f32_e32 v32, v27
	v_div_scale_f32 v34, vcc, v9, s70, v9
	v_fma_f32 v36, -v27, v32, 1.0
	v_fmac_f32_e32 v32, v36, v32
	v_mul_f32_e32 v36, v34, v32
	v_fma_f32 v39, -v27, v36, v34
	v_fmac_f32_e32 v36, v39, v32
	v_fma_f32 v27, -v27, v36, v34
	v_div_fmas_f32 v27, v27, v32, v36
	v_div_fixup_f32 v9, v27, s70, v9
	v_mul_f32_e32 v9, v9, v26
	v_fma_mixlo_f16 v32, v9, v40, v24 op_sel_hi:[0,1,1]
.LBB36_230:                             ;   in Loop: Header=BB36_85 Depth=2
	s_or_b64 exec, exec, s[80:81]
	s_cbranch_execnz .LBB36_232
.LBB36_231:                             ;   in Loop: Header=BB36_85 Depth=2
	v_bfe_i32 v8, v8, 0, 8
	v_cvt_f32_i32_sdwa v8, sext(v8) dst_sel:DWORD dst_unused:UNUSED_PAD src0_sel:WORD_0
	v_fma_mixlo_f16 v32, v8, v40, v24 op_sel_hi:[0,1,1]
.LBB36_232:                             ;   in Loop: Header=BB36_85 Depth=2
	s_and_b64 vcc, exec, s[4:5]
	s_cbranch_vccnz .LBB36_345
; %bb.233:                              ;   in Loop: Header=BB36_85 Depth=2
	v_lshrrev_b64 v[8:9], 24, v[6:7]
	v_cmp_ne_u16_sdwa s[80:81], v8, v15 src0_sel:BYTE_0 src1_sel:DWORD
	v_cmp_neq_f16_e32 vcc, 0, v40
	s_and_b64 s[88:89], s[80:81], vcc
	v_mov_b32_e32 v9, v23
	s_and_saveexec_b64 s[80:81], s[88:89]
	s_cbranch_execz .LBB36_235
; %bb.234:                              ;   in Loop: Header=BB36_85 Depth=2
	ds_read_u16 v9, v12 offset:54
	v_bfe_i32 v8, v8, 0, 8
	v_cvt_f32_i32_sdwa v8, sext(v8) dst_sel:DWORD dst_unused:UNUSED_PAD src0_sel:WORD_0
	s_waitcnt lgkmcnt(0)
	v_cvt_f32_f16_e32 v9, v9
	v_div_scale_f32 v24, s[88:89], s70, s70, v9
	v_rcp_f32_e32 v26, v24
	v_div_scale_f32 v27, vcc, v9, s70, v9
	v_fma_f32 v34, -v24, v26, 1.0
	v_fmac_f32_e32 v26, v34, v26
	v_mul_f32_e32 v34, v27, v26
	v_fma_f32 v36, -v24, v34, v27
	v_fmac_f32_e32 v34, v36, v26
	v_fma_f32 v24, -v24, v34, v27
	v_div_fmas_f32 v24, v24, v26, v34
	v_div_fixup_f32 v9, v24, s70, v9
	v_mul_f32_e32 v8, v9, v8
	v_fma_mixlo_f16 v9, v8, v40, v23 op_sel_hi:[0,1,1]
.LBB36_235:                             ;   in Loop: Header=BB36_85 Depth=2
	s_or_b64 exec, exec, s[80:81]
	s_cbranch_execnz .LBB36_237
.LBB36_236:                             ;   in Loop: Header=BB36_85 Depth=2
	v_lshrrev_b32_e32 v6, 24, v6
	v_bfe_i32 v6, v6, 0, 8
	v_cvt_f32_i32_sdwa v6, sext(v6) dst_sel:DWORD dst_unused:UNUSED_PAD src0_sel:WORD_0
	v_fma_mixlo_f16 v9, v6, v40, v23 op_sel_hi:[0,1,1]
.LBB36_237:                             ;   in Loop: Header=BB36_85 Depth=2
	s_and_b64 vcc, exec, s[4:5]
	s_cbranch_vccnz .LBB36_346
; %bb.238:                              ;   in Loop: Header=BB36_85 Depth=2
	v_cmp_ne_u16_sdwa s[80:81], v7, v15 src0_sel:BYTE_0 src1_sel:DWORD
	v_cmp_neq_f16_e32 vcc, 0, v40
	s_and_b64 s[88:89], s[80:81], vcc
	v_mov_b32_e32 v6, v22
	s_and_saveexec_b64 s[80:81], s[88:89]
	s_cbranch_execz .LBB36_240
; %bb.239:                              ;   in Loop: Header=BB36_85 Depth=2
	ds_read_u16 v6, v12 offset:56
	v_bfe_i32 v8, v7, 0, 8
	v_cvt_f32_i32_sdwa v8, sext(v8) dst_sel:DWORD dst_unused:UNUSED_PAD src0_sel:WORD_0
	s_waitcnt lgkmcnt(0)
	v_cvt_f32_f16_e32 v6, v6
	v_div_scale_f32 v23, s[88:89], s70, s70, v6
	v_rcp_f32_e32 v24, v23
	v_div_scale_f32 v26, vcc, v6, s70, v6
	v_fma_f32 v27, -v23, v24, 1.0
	v_fmac_f32_e32 v24, v27, v24
	v_mul_f32_e32 v27, v26, v24
	v_fma_f32 v34, -v23, v27, v26
	v_fmac_f32_e32 v27, v34, v24
	v_fma_f32 v23, -v23, v27, v26
	v_div_fmas_f32 v23, v23, v24, v27
	v_div_fixup_f32 v6, v23, s70, v6
	v_mul_f32_e32 v6, v6, v8
	v_fma_mixlo_f16 v6, v6, v40, v22 op_sel_hi:[0,1,1]
.LBB36_240:                             ;   in Loop: Header=BB36_85 Depth=2
	s_or_b64 exec, exec, s[80:81]
	s_cbranch_execnz .LBB36_242
.LBB36_241:                             ;   in Loop: Header=BB36_85 Depth=2
	v_bfe_i32 v6, v7, 0, 8
	v_cvt_f32_i32_sdwa v6, sext(v6) dst_sel:DWORD dst_unused:UNUSED_PAD src0_sel:WORD_0
	v_fma_mixlo_f16 v6, v6, v40, v22 op_sel_hi:[0,1,1]
.LBB36_242:                             ;   in Loop: Header=BB36_85 Depth=2
	s_and_b64 vcc, exec, s[4:5]
	v_lshrrev_b32_e32 v22, 8, v7
	s_cbranch_vccnz .LBB36_347
; %bb.243:                              ;   in Loop: Header=BB36_85 Depth=2
	v_cmp_ne_u16_sdwa s[80:81], v22, v15 src0_sel:BYTE_0 src1_sel:DWORD
	v_cmp_neq_f16_e32 vcc, 0, v40
	s_and_b64 s[88:89], s[80:81], vcc
	v_mov_b32_e32 v8, v20
	s_and_saveexec_b64 s[80:81], s[88:89]
	s_cbranch_execz .LBB36_245
; %bb.244:                              ;   in Loop: Header=BB36_85 Depth=2
	ds_read_u16 v8, v12 offset:58
	v_bfe_i32 v23, v22, 0, 8
	v_cvt_f32_i32_sdwa v23, sext(v23) dst_sel:DWORD dst_unused:UNUSED_PAD src0_sel:WORD_0
	s_waitcnt lgkmcnt(0)
	v_cvt_f32_f16_e32 v8, v8
	v_div_scale_f32 v24, s[88:89], s70, s70, v8
	v_rcp_f32_e32 v26, v24
	v_div_scale_f32 v27, vcc, v8, s70, v8
	v_fma_f32 v34, -v24, v26, 1.0
	v_fmac_f32_e32 v26, v34, v26
	v_mul_f32_e32 v34, v27, v26
	v_fma_f32 v36, -v24, v34, v27
	v_fmac_f32_e32 v34, v36, v26
	v_fma_f32 v24, -v24, v34, v27
	v_div_fmas_f32 v24, v24, v26, v34
	v_div_fixup_f32 v8, v24, s70, v8
	v_mul_f32_e32 v8, v8, v23
	v_fma_mixlo_f16 v8, v8, v40, v20 op_sel_hi:[0,1,1]
.LBB36_245:                             ;   in Loop: Header=BB36_85 Depth=2
	s_or_b64 exec, exec, s[80:81]
	s_cbranch_execnz .LBB36_247
.LBB36_246:                             ;   in Loop: Header=BB36_85 Depth=2
	v_bfe_i32 v8, v22, 0, 8
	v_cvt_f32_i32_sdwa v8, sext(v8) dst_sel:DWORD dst_unused:UNUSED_PAD src0_sel:WORD_0
	v_fma_mixlo_f16 v8, v8, v40, v20 op_sel_hi:[0,1,1]
.LBB36_247:                             ;   in Loop: Header=BB36_85 Depth=2
	s_and_b64 vcc, exec, s[4:5]
	v_lshrrev_b32_e32 v20, 16, v7
	s_cbranch_vccnz .LBB36_348
; %bb.248:                              ;   in Loop: Header=BB36_85 Depth=2
	v_cmp_ne_u16_sdwa s[80:81], v20, v15 src0_sel:BYTE_0 src1_sel:DWORD
	v_cmp_neq_f16_e32 vcc, 0, v40
	s_and_b64 s[88:89], s[80:81], vcc
	v_mov_b32_e32 v34, v19
	s_and_saveexec_b64 s[80:81], s[88:89]
	s_cbranch_execz .LBB36_250
; %bb.249:                              ;   in Loop: Header=BB36_85 Depth=2
	ds_read_u16 v22, v12 offset:60
	v_bfe_i32 v23, v20, 0, 8
	v_cvt_f32_i32_sdwa v23, sext(v23) dst_sel:DWORD dst_unused:UNUSED_PAD src0_sel:WORD_0
	s_waitcnt lgkmcnt(0)
	v_cvt_f32_f16_e32 v22, v22
	v_div_scale_f32 v24, s[88:89], s70, s70, v22
	v_rcp_f32_e32 v26, v24
	v_div_scale_f32 v27, vcc, v22, s70, v22
	v_fma_f32 v34, -v24, v26, 1.0
	v_fmac_f32_e32 v26, v34, v26
	v_mul_f32_e32 v34, v27, v26
	v_fma_f32 v36, -v24, v34, v27
	v_fmac_f32_e32 v34, v36, v26
	v_fma_f32 v24, -v24, v34, v27
	v_div_fmas_f32 v24, v24, v26, v34
	v_div_fixup_f32 v22, v24, s70, v22
	v_mul_f32_e32 v22, v22, v23
	v_fma_mixlo_f16 v34, v22, v40, v19 op_sel_hi:[0,1,1]
.LBB36_250:                             ;   in Loop: Header=BB36_85 Depth=2
	s_or_b64 exec, exec, s[80:81]
	s_cbranch_execnz .LBB36_252
.LBB36_251:                             ;   in Loop: Header=BB36_85 Depth=2
	v_bfe_i32 v20, v20, 0, 8
	v_cvt_f32_i32_sdwa v20, sext(v20) dst_sel:DWORD dst_unused:UNUSED_PAD src0_sel:WORD_0
	v_fma_mixlo_f16 v34, v20, v40, v19 op_sel_hi:[0,1,1]
.LBB36_252:                             ;   in Loop: Header=BB36_85 Depth=2
	s_and_b64 vcc, exec, s[4:5]
	v_lshrrev_b32_e32 v19, 24, v7
	s_cbranch_vccnz .LBB36_349
; %bb.253:                              ;   in Loop: Header=BB36_85 Depth=2
	v_cmp_ne_u16_e32 vcc, 0, v19
	v_cmp_neq_f16_e64 s[80:81], 0, v40
	s_and_b64 s[88:89], vcc, s[80:81]
	v_mov_b32_e32 v7, v5
	s_and_saveexec_b64 s[80:81], s[88:89]
	s_cbranch_execz .LBB36_255
; %bb.254:                              ;   in Loop: Header=BB36_85 Depth=2
	ds_read_u16 v7, v12 offset:62
	v_bfe_i32 v20, v19, 0, 8
	v_cvt_f32_i32_sdwa v20, sext(v20) dst_sel:DWORD dst_unused:UNUSED_PAD src0_sel:WORD_0
	s_waitcnt lgkmcnt(0)
	v_cvt_f32_f16_e32 v7, v7
	v_div_scale_f32 v22, s[88:89], s70, s70, v7
	v_rcp_f32_e32 v23, v22
	v_div_scale_f32 v24, vcc, v7, s70, v7
	v_fma_f32 v26, -v22, v23, 1.0
	v_fmac_f32_e32 v23, v26, v23
	v_mul_f32_e32 v26, v24, v23
	v_fma_f32 v27, -v22, v26, v24
	v_fmac_f32_e32 v26, v27, v23
	v_fma_f32 v22, -v22, v26, v24
	v_div_fmas_f32 v22, v22, v23, v26
	v_div_fixup_f32 v7, v22, s70, v7
	v_mul_f32_e32 v7, v7, v20
	v_fma_mixlo_f16 v7, v7, v40, v5 op_sel_hi:[0,1,1]
.LBB36_255:                             ;   in Loop: Header=BB36_85 Depth=2
	s_or_b64 exec, exec, s[80:81]
	s_cbranch_execnz .LBB36_80
	s_branch .LBB36_350
.LBB36_256:                             ;   in Loop: Header=BB36_85 Depth=2
	v_ashrrev_i32_e32 v7, 31, v33
	v_mov_b32_e32 v35, s85
	v_add_co_u32_e32 v6, vcc, s84, v33
	v_addc_co_u32_e32 v7, vcc, v35, v7, vcc
	global_load_ubyte v33, v[6:7], off
	v_mov_b32_e32 v35, 0
	v_mov_b32_e32 v37, 0
	s_and_saveexec_b64 s[88:89], s[22:23]
	s_cbranch_execz .LBB36_258
; %bb.257:                              ;   in Loop: Header=BB36_85 Depth=2
	global_load_ubyte v37, v[6:7], off offset:1
.LBB36_258:                             ;   in Loop: Header=BB36_85 Depth=2
	s_or_b64 exec, exec, s[88:89]
	s_and_saveexec_b64 s[88:89], s[24:25]
	s_cbranch_execz .LBB36_260
; %bb.259:                              ;   in Loop: Header=BB36_85 Depth=2
	global_load_ubyte v35, v[6:7], off offset:2
.LBB36_260:                             ;   in Loop: Header=BB36_85 Depth=2
	s_or_b64 exec, exec, s[88:89]
	v_mov_b32_e32 v40, 0
	v_mov_b32_e32 v38, 0
	s_and_saveexec_b64 s[88:89], s[26:27]
	s_cbranch_execz .LBB36_262
; %bb.261:                              ;   in Loop: Header=BB36_85 Depth=2
	global_load_ubyte v38, v[6:7], off offset:3
.LBB36_262:                             ;   in Loop: Header=BB36_85 Depth=2
	s_or_b64 exec, exec, s[88:89]
	s_and_saveexec_b64 s[88:89], s[28:29]
	s_cbranch_execz .LBB36_264
; %bb.263:                              ;   in Loop: Header=BB36_85 Depth=2
	global_load_ubyte v40, v[6:7], off offset:4
.LBB36_264:                             ;   in Loop: Header=BB36_85 Depth=2
	s_or_b64 exec, exec, s[88:89]
	v_mov_b32_e32 v41, 0
	v_mov_b32_e32 v43, 0
	s_and_saveexec_b64 s[88:89], s[30:31]
	s_cbranch_execnz .LBB36_293
; %bb.265:                              ;   in Loop: Header=BB36_85 Depth=2
	s_or_b64 exec, exec, s[88:89]
	s_and_saveexec_b64 s[88:89], s[34:35]
	s_cbranch_execnz .LBB36_294
.LBB36_266:                             ;   in Loop: Header=BB36_85 Depth=2
	s_or_b64 exec, exec, s[88:89]
	v_mov_b32_e32 v45, 0
	s_and_saveexec_b64 s[88:89], s[36:37]
	s_cbranch_execz .LBB36_268
.LBB36_267:                             ;   in Loop: Header=BB36_85 Depth=2
	global_load_ubyte v45, v[6:7], off offset:7
.LBB36_268:                             ;   in Loop: Header=BB36_85 Depth=2
	s_or_b64 exec, exec, s[88:89]
	s_waitcnt vmcnt(0)
	v_lshlrev_b16_e32 v6, 8, v43
	v_lshlrev_b16_e32 v7, 8, v45
	v_or_b32_sdwa v6, v40, v6 dst_sel:DWORD dst_unused:UNUSED_PAD src0_sel:BYTE_0 src1_sel:DWORD
	v_or_b32_sdwa v7, v41, v7 dst_sel:WORD_1 dst_unused:UNUSED_PAD src0_sel:BYTE_0 src1_sel:DWORD
	v_or_b32_sdwa v7, v6, v7 dst_sel:DWORD dst_unused:UNUSED_PAD src0_sel:WORD_0 src1_sel:DWORD
	v_lshlrev_b16_e32 v6, 8, v37
	v_or_b32_sdwa v6, v33, v6 dst_sel:DWORD dst_unused:UNUSED_PAD src0_sel:BYTE_0 src1_sel:DWORD
	v_lshlrev_b16_e32 v33, 8, v38
	v_or_b32_sdwa v33, v35, v33 dst_sel:WORD_1 dst_unused:UNUSED_PAD src0_sel:BYTE_0 src1_sel:DWORD
	v_or_b32_sdwa v6, v6, v33 dst_sel:DWORD dst_unused:UNUSED_PAD src0_sel:WORD_0 src1_sel:DWORD
                                        ; implicit-def: $vgpr33
	s_andn2_saveexec_b64 s[80:81], s[80:81]
	s_cbranch_execz .LBB36_88
.LBB36_269:                             ;   in Loop: Header=BB36_85 Depth=2
	v_ashrrev_i32_e32 v6, 31, v33
	v_lshrrev_b32_e32 v6, 29, v6
	v_add_u32_e32 v6, v33, v6
	v_ashrrev_i32_e32 v6, 3, v6
	v_ashrrev_i32_e32 v7, 31, v6
	v_lshlrev_b64 v[6:7], 3, v[6:7]
	v_mov_b32_e32 v33, s85
	v_add_co_u32_e32 v6, vcc, s84, v6
	v_addc_co_u32_e32 v7, vcc, v33, v7, vcc
	global_load_dwordx2 v[6:7], v[6:7], off
	s_or_b64 exec, exec, s[80:81]
	s_and_b64 vcc, exec, s[4:5]
	s_cbranch_vccz .LBB36_89
.LBB36_270:                             ;   in Loop: Header=BB36_85 Depth=2
                                        ; implicit-def: $vgpr33
                                        ; implicit-def: $vgpr40
	s_branch .LBB36_92
.LBB36_271:                             ;   in Loop: Header=BB36_85 Depth=2
                                        ; implicit-def: $vgpr35
	s_branch .LBB36_97
.LBB36_272:                             ;   in Loop: Header=BB36_85 Depth=2
                                        ; implicit-def: $vgpr37
	s_branch .LBB36_102
.LBB36_273:                             ;   in Loop: Header=BB36_85 Depth=2
                                        ; implicit-def: $vgpr38
	s_branch .LBB36_107
.LBB36_274:                             ;   in Loop: Header=BB36_85 Depth=2
                                        ; implicit-def: $vgpr41
	s_branch .LBB36_112
.LBB36_275:                             ;   in Loop: Header=BB36_85 Depth=2
                                        ; implicit-def: $vgpr43
	s_branch .LBB36_117
.LBB36_276:                             ;   in Loop: Header=BB36_85 Depth=2
                                        ; implicit-def: $vgpr45
	s_branch .LBB36_122
.LBB36_277:                             ;   in Loop: Header=BB36_85 Depth=2
                                        ; implicit-def: $vgpr46
	s_branch .LBB36_127
.LBB36_278:                             ;   in Loop: Header=BB36_85 Depth=2
	v_ashrrev_i32_e32 v6, 31, v50
	v_add_co_u32_e32 v7, vcc, v4, v50
	v_addc_co_u32_e32 v8, vcc, v1, v6, vcc
	v_mov_b32_e32 v6, s67
	v_add_co_u32_e32 v52, vcc, s66, v7
	v_addc_co_u32_e32 v53, vcc, v6, v8, vcc
	global_load_ubyte v6, v[52:53], off
	v_mov_b32_e32 v9, 0
	v_mov_b32_e32 v47, 0
	s_and_saveexec_b64 s[90:91], s[38:39]
	s_cbranch_execz .LBB36_280
; %bb.279:                              ;   in Loop: Header=BB36_85 Depth=2
	v_readlane_b32 s88, v69, 17
	v_mov_b32_e32 v47, s88
	v_readlane_b32 s88, v69, 16
	v_add_co_u32_e32 v52, vcc, s88, v7
	v_addc_co_u32_e32 v53, vcc, v47, v8, vcc
	global_load_ubyte v47, v[52:53], off
.LBB36_280:                             ;   in Loop: Header=BB36_85 Depth=2
	s_or_b64 exec, exec, s[90:91]
	s_and_saveexec_b64 s[88:89], s[40:41]
	s_cbranch_execz .LBB36_282
; %bb.281:                              ;   in Loop: Header=BB36_85 Depth=2
	v_readlane_b32 s90, v69, 19
	v_mov_b32_e32 v9, s90
	v_readlane_b32 s90, v69, 18
	v_add_co_u32_e32 v52, vcc, s90, v7
	v_addc_co_u32_e32 v53, vcc, v9, v8, vcc
	global_load_ubyte v9, v[52:53], off
.LBB36_282:                             ;   in Loop: Header=BB36_85 Depth=2
	s_or_b64 exec, exec, s[88:89]
	v_mov_b32_e32 v52, 0
	v_mov_b32_e32 v49, 0
	s_and_saveexec_b64 s[88:89], s[42:43]
	s_cbranch_execz .LBB36_284
; %bb.283:                              ;   in Loop: Header=BB36_85 Depth=2
	v_readlane_b32 s90, v69, 21
	v_mov_b32_e32 v49, s90
	v_readlane_b32 s90, v69, 20
	v_add_co_u32_e32 v64, vcc, s90, v7
	v_addc_co_u32_e32 v65, vcc, v49, v8, vcc
	global_load_ubyte v49, v[64:65], off
.LBB36_284:                             ;   in Loop: Header=BB36_85 Depth=2
	s_or_b64 exec, exec, s[88:89]
	s_and_saveexec_b64 s[88:89], s[44:45]
	s_cbranch_execz .LBB36_286
; %bb.285:                              ;   in Loop: Header=BB36_85 Depth=2
	v_readlane_b32 s90, v69, 23
	v_mov_b32_e32 v53, s90
	v_readlane_b32 s90, v69, 22
	v_add_co_u32_e32 v52, vcc, s90, v7
	v_addc_co_u32_e32 v53, vcc, v53, v8, vcc
	global_load_ubyte v52, v[52:53], off
.LBB36_286:                             ;   in Loop: Header=BB36_85 Depth=2
	s_or_b64 exec, exec, s[88:89]
	v_mov_b32_e32 v53, 0
	v_mov_b32_e32 v55, 0
	s_and_saveexec_b64 s[88:89], s[46:47]
	s_cbranch_execnz .LBB36_317
; %bb.287:                              ;   in Loop: Header=BB36_85 Depth=2
	s_or_b64 exec, exec, s[88:89]
	s_and_saveexec_b64 s[88:89], s[48:49]
	s_cbranch_execnz .LBB36_318
.LBB36_288:                             ;   in Loop: Header=BB36_85 Depth=2
	s_or_b64 exec, exec, s[88:89]
	v_mov_b32_e32 v57, 0
	s_and_saveexec_b64 s[88:89], s[50:51]
	s_cbranch_execz .LBB36_290
.LBB36_289:                             ;   in Loop: Header=BB36_85 Depth=2
	v_readlane_b32 s90, v69, 29
	v_mov_b32_e32 v57, s90
	v_readlane_b32 s90, v69, 28
	v_add_co_u32_e32 v64, vcc, s90, v7
	v_addc_co_u32_e32 v65, vcc, v57, v8, vcc
	global_load_ubyte v57, v[64:65], off
.LBB36_290:                             ;   in Loop: Header=BB36_85 Depth=2
	s_or_b64 exec, exec, s[88:89]
	s_waitcnt vmcnt(0)
	v_lshlrev_b16_e32 v7, 8, v55
	v_lshlrev_b16_e32 v8, 8, v57
	v_or_b32_sdwa v7, v52, v7 dst_sel:DWORD dst_unused:UNUSED_PAD src0_sel:BYTE_0 src1_sel:DWORD
	v_or_b32_sdwa v8, v53, v8 dst_sel:WORD_1 dst_unused:UNUSED_PAD src0_sel:BYTE_0 src1_sel:DWORD
	v_or_b32_sdwa v7, v7, v8 dst_sel:DWORD dst_unused:UNUSED_PAD src0_sel:WORD_0 src1_sel:DWORD
	v_lshlrev_b16_e32 v8, 8, v47
	v_or_b32_sdwa v6, v6, v8 dst_sel:DWORD dst_unused:UNUSED_PAD src0_sel:BYTE_0 src1_sel:DWORD
	v_lshlrev_b16_e32 v8, 8, v49
	v_or_b32_sdwa v8, v9, v8 dst_sel:WORD_1 dst_unused:UNUSED_PAD src0_sel:BYTE_0 src1_sel:DWORD
	v_or_b32_sdwa v6, v6, v8 dst_sel:DWORD dst_unused:UNUSED_PAD src0_sel:WORD_0 src1_sel:DWORD
	s_andn2_saveexec_b64 s[80:81], s[80:81]
	s_cbranch_execz .LBB36_131
.LBB36_291:                             ;   in Loop: Header=BB36_85 Depth=2
	v_add_u32_e32 v6, v25, v50
	v_ashrrev_i32_e32 v7, 31, v6
	v_lshrrev_b32_e32 v7, 29, v7
	v_add_u32_e32 v6, v6, v7
	v_ashrrev_i32_e32 v6, 3, v6
	v_ashrrev_i32_e32 v7, 31, v6
	v_lshlrev_b64 v[6:7], 3, v[6:7]
	v_mov_b32_e32 v8, s85
	v_add_co_u32_e32 v6, vcc, s84, v6
	v_addc_co_u32_e32 v7, vcc, v8, v7, vcc
	global_load_dwordx2 v[6:7], v[6:7], off
	s_or_b64 exec, exec, s[80:81]
	s_and_b64 vcc, exec, s[4:5]
	s_cbranch_vccz .LBB36_132
.LBB36_292:                             ;   in Loop: Header=BB36_85 Depth=2
                                        ; implicit-def: $vgpr47
	s_branch .LBB36_135
.LBB36_293:                             ;   in Loop: Header=BB36_85 Depth=2
	global_load_ubyte v43, v[6:7], off offset:5
	s_or_b64 exec, exec, s[88:89]
	s_and_saveexec_b64 s[88:89], s[34:35]
	s_cbranch_execz .LBB36_266
.LBB36_294:                             ;   in Loop: Header=BB36_85 Depth=2
	global_load_ubyte v41, v[6:7], off offset:6
	s_or_b64 exec, exec, s[88:89]
	v_mov_b32_e32 v45, 0
	s_and_saveexec_b64 s[88:89], s[36:37]
	s_cbranch_execnz .LBB36_267
	s_branch .LBB36_268
.LBB36_295:                             ;   in Loop: Header=BB36_85 Depth=2
                                        ; implicit-def: $vgpr49
	s_branch .LBB36_140
.LBB36_296:                             ;   in Loop: Header=BB36_85 Depth=2
                                        ; implicit-def: $vgpr52
	s_branch .LBB36_145
.LBB36_297:                             ;   in Loop: Header=BB36_85 Depth=2
                                        ; implicit-def: $vgpr53
	s_branch .LBB36_150
.LBB36_298:                             ;   in Loop: Header=BB36_85 Depth=2
                                        ; implicit-def: $vgpr55
	s_branch .LBB36_155
.LBB36_299:                             ;   in Loop: Header=BB36_85 Depth=2
                                        ; implicit-def: $vgpr57
	s_branch .LBB36_160
.LBB36_300:                             ;   in Loop: Header=BB36_85 Depth=2
                                        ; implicit-def: $vgpr58
	s_branch .LBB36_165
.LBB36_301:                             ;   in Loop: Header=BB36_85 Depth=2
                                        ; implicit-def: $vgpr60
	s_branch .LBB36_170
.LBB36_302:                             ;   in Loop: Header=BB36_85 Depth=2
	v_ashrrev_i32_e32 v6, 31, v50
	v_add_co_u32_e32 v7, vcc, v4, v50
	v_readlane_b32 s88, v69, 31
	v_addc_co_u32_e32 v8, vcc, v1, v6, vcc
	v_mov_b32_e32 v6, s88
	v_readlane_b32 s88, v69, 30
	v_add_co_u32_e32 v62, vcc, s88, v7
	v_addc_co_u32_e32 v63, vcc, v6, v8, vcc
	global_load_ubyte v6, v[62:63], off
	v_mov_b32_e32 v9, 0
	v_mov_b32_e32 v48, 0
	s_and_saveexec_b64 s[90:91], s[52:53]
	s_cbranch_execz .LBB36_304
; %bb.303:                              ;   in Loop: Header=BB36_85 Depth=2
	v_readlane_b32 s88, v69, 33
	v_mov_b32_e32 v48, s88
	v_readlane_b32 s88, v69, 32
	v_add_co_u32_e32 v62, vcc, s88, v7
	v_addc_co_u32_e32 v63, vcc, v48, v8, vcc
	global_load_ubyte v48, v[62:63], off
.LBB36_304:                             ;   in Loop: Header=BB36_85 Depth=2
	s_or_b64 exec, exec, s[90:91]
	s_and_saveexec_b64 s[88:89], s[54:55]
	s_cbranch_execz .LBB36_306
; %bb.305:                              ;   in Loop: Header=BB36_85 Depth=2
	v_readlane_b32 s90, v69, 35
	v_mov_b32_e32 v9, s90
	v_readlane_b32 s90, v69, 34
	v_add_co_u32_e32 v62, vcc, s90, v7
	v_addc_co_u32_e32 v63, vcc, v9, v8, vcc
	global_load_ubyte v9, v[62:63], off
.LBB36_306:                             ;   in Loop: Header=BB36_85 Depth=2
	s_or_b64 exec, exec, s[88:89]
	v_mov_b32_e32 v54, 0
	v_mov_b32_e32 v51, 0
	s_and_saveexec_b64 s[88:89], s[56:57]
	s_cbranch_execz .LBB36_308
; %bb.307:                              ;   in Loop: Header=BB36_85 Depth=2
	v_readlane_b32 s90, v69, 37
	v_mov_b32_e32 v51, s90
	v_readlane_b32 s90, v69, 36
	v_add_co_u32_e32 v62, vcc, s90, v7
	v_addc_co_u32_e32 v63, vcc, v51, v8, vcc
	global_load_ubyte v51, v[62:63], off
.LBB36_308:                             ;   in Loop: Header=BB36_85 Depth=2
	s_or_b64 exec, exec, s[88:89]
	s_and_saveexec_b64 s[88:89], s[58:59]
	s_cbranch_execz .LBB36_310
; %bb.309:                              ;   in Loop: Header=BB36_85 Depth=2
	v_readlane_b32 s90, v69, 39
	v_mov_b32_e32 v54, s90
	v_readlane_b32 s90, v69, 38
	v_add_co_u32_e32 v62, vcc, s90, v7
	v_addc_co_u32_e32 v63, vcc, v54, v8, vcc
	global_load_ubyte v54, v[62:63], off
.LBB36_310:                             ;   in Loop: Header=BB36_85 Depth=2
	s_or_b64 exec, exec, s[88:89]
	v_mov_b32_e32 v56, 0
	v_mov_b32_e32 v59, 0
	s_and_saveexec_b64 s[88:89], s[60:61]
	s_cbranch_execnz .LBB36_341
; %bb.311:                              ;   in Loop: Header=BB36_85 Depth=2
	s_or_b64 exec, exec, s[88:89]
	s_and_saveexec_b64 s[88:89], s[62:63]
	s_cbranch_execnz .LBB36_342
.LBB36_312:                             ;   in Loop: Header=BB36_85 Depth=2
	s_or_b64 exec, exec, s[88:89]
	v_mov_b32_e32 v61, 0
	s_and_saveexec_b64 s[88:89], s[64:65]
	s_cbranch_execz .LBB36_314
.LBB36_313:                             ;   in Loop: Header=BB36_85 Depth=2
	v_readlane_b32 s90, v69, 47
	v_mov_b32_e32 v61, s90
	v_readlane_b32 s90, v69, 46
	v_add_co_u32_e32 v62, vcc, s90, v7
	v_addc_co_u32_e32 v63, vcc, v61, v8, vcc
	global_load_ubyte v61, v[62:63], off
.LBB36_314:                             ;   in Loop: Header=BB36_85 Depth=2
	s_or_b64 exec, exec, s[88:89]
	s_waitcnt vmcnt(0)
	v_lshlrev_b16_e32 v7, 8, v59
	v_lshlrev_b16_e32 v8, 8, v61
	v_or_b32_sdwa v7, v54, v7 dst_sel:DWORD dst_unused:UNUSED_PAD src0_sel:BYTE_0 src1_sel:DWORD
	v_or_b32_sdwa v8, v56, v8 dst_sel:WORD_1 dst_unused:UNUSED_PAD src0_sel:BYTE_0 src1_sel:DWORD
	v_or_b32_sdwa v7, v7, v8 dst_sel:DWORD dst_unused:UNUSED_PAD src0_sel:WORD_0 src1_sel:DWORD
	v_lshlrev_b16_e32 v8, 8, v48
	v_or_b32_sdwa v6, v6, v8 dst_sel:DWORD dst_unused:UNUSED_PAD src0_sel:BYTE_0 src1_sel:DWORD
	v_lshlrev_b16_e32 v8, 8, v51
	v_or_b32_sdwa v8, v9, v8 dst_sel:WORD_1 dst_unused:UNUSED_PAD src0_sel:BYTE_0 src1_sel:DWORD
	v_or_b32_sdwa v6, v6, v8 dst_sel:DWORD dst_unused:UNUSED_PAD src0_sel:WORD_0 src1_sel:DWORD
	s_andn2_saveexec_b64 s[80:81], s[80:81]
	s_cbranch_execz .LBB36_174
.LBB36_315:                             ;   in Loop: Header=BB36_85 Depth=2
	v_add_u32_e32 v6, v21, v50
	v_ashrrev_i32_e32 v7, 31, v6
	v_lshrrev_b32_e32 v7, 29, v7
	v_add_u32_e32 v6, v6, v7
	v_ashrrev_i32_e32 v6, 3, v6
	v_ashrrev_i32_e32 v7, 31, v6
	v_lshlrev_b64 v[6:7], 3, v[6:7]
	v_mov_b32_e32 v8, s85
	v_add_co_u32_e32 v6, vcc, s84, v6
	v_addc_co_u32_e32 v7, vcc, v8, v7, vcc
	global_load_dwordx2 v[6:7], v[6:7], off
	s_or_b64 exec, exec, s[80:81]
	s_and_b64 vcc, exec, s[4:5]
	s_cbranch_vccz .LBB36_175
.LBB36_316:                             ;   in Loop: Header=BB36_85 Depth=2
                                        ; implicit-def: $vgpr48
	s_branch .LBB36_178
.LBB36_317:                             ;   in Loop: Header=BB36_85 Depth=2
	v_readlane_b32 s90, v69, 25
	v_mov_b32_e32 v55, s90
	v_readlane_b32 s90, v69, 24
	v_add_co_u32_e32 v64, vcc, s90, v7
	v_addc_co_u32_e32 v65, vcc, v55, v8, vcc
	global_load_ubyte v55, v[64:65], off
	s_or_b64 exec, exec, s[88:89]
	s_and_saveexec_b64 s[88:89], s[48:49]
	s_cbranch_execz .LBB36_288
.LBB36_318:                             ;   in Loop: Header=BB36_85 Depth=2
	v_readlane_b32 s90, v69, 27
	v_mov_b32_e32 v53, s90
	v_readlane_b32 s90, v69, 26
	v_add_co_u32_e32 v64, vcc, s90, v7
	v_addc_co_u32_e32 v65, vcc, v53, v8, vcc
	global_load_ubyte v53, v[64:65], off
	s_or_b64 exec, exec, s[88:89]
	v_mov_b32_e32 v57, 0
	s_and_saveexec_b64 s[88:89], s[50:51]
	s_cbranch_execnz .LBB36_289
	s_branch .LBB36_290
.LBB36_319:                             ;   in Loop: Header=BB36_85 Depth=2
                                        ; implicit-def: $vgpr51
	s_branch .LBB36_183
.LBB36_320:                             ;   in Loop: Header=BB36_85 Depth=2
                                        ; implicit-def: $vgpr54
	s_branch .LBB36_188
.LBB36_321:                             ;   in Loop: Header=BB36_85 Depth=2
                                        ; implicit-def: $vgpr56
	s_branch .LBB36_193
.LBB36_322:                             ;   in Loop: Header=BB36_85 Depth=2
                                        ; implicit-def: $vgpr59
	s_branch .LBB36_198
.LBB36_323:                             ;   in Loop: Header=BB36_85 Depth=2
                                        ; implicit-def: $vgpr61
	s_branch .LBB36_203
.LBB36_324:                             ;   in Loop: Header=BB36_85 Depth=2
                                        ; implicit-def: $vgpr62
	s_branch .LBB36_208
.LBB36_325:                             ;   in Loop: Header=BB36_85 Depth=2
                                        ; implicit-def: $vgpr63
	s_branch .LBB36_213
.LBB36_326:                             ;   in Loop: Header=BB36_85 Depth=2
	v_ashrrev_i32_e32 v6, 31, v50
	v_add_co_u32_e32 v7, vcc, v4, v50
	v_readlane_b32 s88, v69, 49
	v_addc_co_u32_e32 v8, vcc, v1, v6, vcc
	v_mov_b32_e32 v6, s88
	v_readlane_b32 s88, v69, 48
	v_add_co_u32_e32 v30, vcc, s88, v7
	v_addc_co_u32_e32 v31, vcc, v6, v8, vcc
	global_load_ubyte v6, v[30:31], off
	v_mov_b32_e32 v9, 0
	v_mov_b32_e32 v30, 0
	s_mov_b64 s[88:89], exec
	v_readlane_b32 vcc_lo, v68, 50
	v_readlane_b32 vcc_hi, v68, 51
	s_and_b64 vcc, s[88:89], vcc
	s_mov_b64 exec, vcc
	s_cbranch_execz .LBB36_328
; %bb.327:                              ;   in Loop: Header=BB36_85 Depth=2
	v_readlane_b32 vcc_lo, v69, 51
	v_mov_b32_e32 v31, vcc_lo
	v_readlane_b32 vcc_lo, v69, 50
	v_add_co_u32_e32 v30, vcc, vcc_lo, v7
	v_addc_co_u32_e32 v31, vcc, v31, v8, vcc
	global_load_ubyte v30, v[30:31], off
.LBB36_328:                             ;   in Loop: Header=BB36_85 Depth=2
	s_or_b64 exec, exec, s[88:89]
	s_mov_b64 s[88:89], exec
	v_readlane_b32 vcc_lo, v68, 52
	v_readlane_b32 vcc_hi, v68, 53
	s_and_b64 vcc, s[88:89], vcc
	s_mov_b64 exec, vcc
	s_cbranch_execz .LBB36_330
; %bb.329:                              ;   in Loop: Header=BB36_85 Depth=2
	v_readlane_b32 vcc_lo, v69, 53
	v_mov_b32_e32 v9, vcc_lo
	v_readlane_b32 vcc_lo, v69, 52
	v_add_co_u32_e32 v64, vcc, vcc_lo, v7
	v_addc_co_u32_e32 v65, vcc, v9, v8, vcc
	global_load_ubyte v9, v[64:65], off
.LBB36_330:                             ;   in Loop: Header=BB36_85 Depth=2
	s_or_b64 exec, exec, s[88:89]
	v_mov_b32_e32 v32, 0
	v_mov_b32_e32 v31, 0
	s_mov_b64 s[88:89], exec
	v_readlane_b32 vcc_lo, v68, 54
	v_readlane_b32 vcc_hi, v68, 55
	s_and_b64 vcc, s[88:89], vcc
	s_mov_b64 exec, vcc
	s_cbranch_execz .LBB36_332
; %bb.331:                              ;   in Loop: Header=BB36_85 Depth=2
	v_readlane_b32 vcc_lo, v69, 55
	v_mov_b32_e32 v31, vcc_lo
	v_readlane_b32 vcc_lo, v69, 54
	v_add_co_u32_e32 v64, vcc, vcc_lo, v7
	v_addc_co_u32_e32 v65, vcc, v31, v8, vcc
	global_load_ubyte v31, v[64:65], off
.LBB36_332:                             ;   in Loop: Header=BB36_85 Depth=2
	s_or_b64 exec, exec, s[88:89]
	s_mov_b64 s[88:89], exec
	v_readlane_b32 vcc_lo, v68, 56
	v_readlane_b32 vcc_hi, v68, 57
	s_and_b64 vcc, s[88:89], vcc
	s_mov_b64 exec, vcc
	s_cbranch_execz .LBB36_334
; %bb.333:                              ;   in Loop: Header=BB36_85 Depth=2
	v_readlane_b32 vcc_lo, v69, 57
	v_mov_b32_e32 v32, vcc_lo
	v_readlane_b32 vcc_lo, v69, 56
	v_add_co_u32_e32 v64, vcc, vcc_lo, v7
	v_addc_co_u32_e32 v65, vcc, v32, v8, vcc
	global_load_ubyte v32, v[64:65], off
.LBB36_334:                             ;   in Loop: Header=BB36_85 Depth=2
	s_or_b64 exec, exec, s[88:89]
	v_mov_b32_e32 v34, 0
	v_mov_b32_e32 v36, 0
	s_and_saveexec_b64 s[88:89], s[74:75]
	s_cbranch_execnz .LBB36_351
; %bb.335:                              ;   in Loop: Header=BB36_85 Depth=2
	s_or_b64 exec, exec, s[88:89]
	s_and_saveexec_b64 s[88:89], s[76:77]
	s_cbranch_execnz .LBB36_352
.LBB36_336:                             ;   in Loop: Header=BB36_85 Depth=2
	s_or_b64 exec, exec, s[88:89]
	v_mov_b32_e32 v39, 0
	s_and_saveexec_b64 s[88:89], s[78:79]
	s_cbranch_execz .LBB36_338
.LBB36_337:                             ;   in Loop: Header=BB36_85 Depth=2
	v_readlane_b32 vcc_lo, v69, 63
	v_mov_b32_e32 v39, vcc_lo
	v_readlane_b32 vcc_lo, v69, 62
	v_add_co_u32_e32 v64, vcc, vcc_lo, v7
	v_addc_co_u32_e32 v65, vcc, v39, v8, vcc
	global_load_ubyte v39, v[64:65], off
.LBB36_338:                             ;   in Loop: Header=BB36_85 Depth=2
	s_or_b64 exec, exec, s[88:89]
	s_waitcnt vmcnt(0)
	v_lshlrev_b16_e32 v7, 8, v36
	v_lshlrev_b16_e32 v8, 8, v39
	v_or_b32_sdwa v7, v32, v7 dst_sel:DWORD dst_unused:UNUSED_PAD src0_sel:BYTE_0 src1_sel:DWORD
	v_or_b32_sdwa v8, v34, v8 dst_sel:WORD_1 dst_unused:UNUSED_PAD src0_sel:BYTE_0 src1_sel:DWORD
	v_or_b32_sdwa v7, v7, v8 dst_sel:DWORD dst_unused:UNUSED_PAD src0_sel:WORD_0 src1_sel:DWORD
	v_lshlrev_b16_e32 v8, 8, v30
	v_or_b32_sdwa v6, v6, v8 dst_sel:DWORD dst_unused:UNUSED_PAD src0_sel:BYTE_0 src1_sel:DWORD
	v_lshlrev_b16_e32 v8, 8, v31
	v_or_b32_sdwa v8, v9, v8 dst_sel:WORD_1 dst_unused:UNUSED_PAD src0_sel:BYTE_0 src1_sel:DWORD
	v_or_b32_sdwa v6, v6, v8 dst_sel:DWORD dst_unused:UNUSED_PAD src0_sel:WORD_0 src1_sel:DWORD
                                        ; implicit-def: $vgpr50
	s_andn2_saveexec_b64 s[80:81], s[80:81]
	s_cbranch_execz .LBB36_217
.LBB36_339:                             ;   in Loop: Header=BB36_85 Depth=2
	v_add_u32_e32 v6, v17, v50
	v_ashrrev_i32_e32 v7, 31, v6
	v_lshrrev_b32_e32 v7, 29, v7
	v_add_u32_e32 v6, v6, v7
	v_ashrrev_i32_e32 v6, 3, v6
	v_ashrrev_i32_e32 v7, 31, v6
	v_lshlrev_b64 v[6:7], 3, v[6:7]
	v_mov_b32_e32 v8, s85
	v_add_co_u32_e32 v6, vcc, s84, v6
	v_addc_co_u32_e32 v7, vcc, v8, v7, vcc
	global_load_dwordx2 v[6:7], v[6:7], off
	s_or_b64 exec, exec, s[80:81]
	s_and_b64 vcc, exec, s[4:5]
	s_cbranch_vccz .LBB36_218
.LBB36_340:                             ;   in Loop: Header=BB36_85 Depth=2
                                        ; implicit-def: $vgpr30
	s_branch .LBB36_221
.LBB36_341:                             ;   in Loop: Header=BB36_85 Depth=2
	v_readlane_b32 s90, v69, 41
	v_mov_b32_e32 v59, s90
	v_readlane_b32 s90, v69, 40
	v_add_co_u32_e32 v62, vcc, s90, v7
	v_addc_co_u32_e32 v63, vcc, v59, v8, vcc
	global_load_ubyte v59, v[62:63], off
	s_or_b64 exec, exec, s[88:89]
	s_and_saveexec_b64 s[88:89], s[62:63]
	s_cbranch_execz .LBB36_312
.LBB36_342:                             ;   in Loop: Header=BB36_85 Depth=2
	v_readlane_b32 s90, v69, 43
	v_mov_b32_e32 v56, s90
	v_readlane_b32 s90, v69, 42
	v_add_co_u32_e32 v62, vcc, s90, v7
	v_addc_co_u32_e32 v63, vcc, v56, v8, vcc
	global_load_ubyte v56, v[62:63], off
	s_or_b64 exec, exec, s[88:89]
	v_mov_b32_e32 v61, 0
	s_and_saveexec_b64 s[88:89], s[64:65]
	s_cbranch_execnz .LBB36_313
	s_branch .LBB36_314
.LBB36_343:                             ;   in Loop: Header=BB36_85 Depth=2
                                        ; implicit-def: $vgpr31
	s_branch .LBB36_226
.LBB36_344:                             ;   in Loop: Header=BB36_85 Depth=2
                                        ; implicit-def: $vgpr32
	s_branch .LBB36_231
.LBB36_345:                             ;   in Loop: Header=BB36_85 Depth=2
                                        ; implicit-def: $vgpr9
	s_branch .LBB36_236
.LBB36_346:                             ;   in Loop: Header=BB36_85 Depth=2
                                        ; implicit-def: $vgpr6
	s_branch .LBB36_241
.LBB36_347:                             ;   in Loop: Header=BB36_85 Depth=2
                                        ; implicit-def: $vgpr8
	s_branch .LBB36_246
.LBB36_348:                             ;   in Loop: Header=BB36_85 Depth=2
                                        ; implicit-def: $vgpr34
	s_branch .LBB36_251
.LBB36_349:                             ;   in Loop: Header=BB36_85 Depth=2
                                        ; implicit-def: $vgpr7
.LBB36_350:                             ;   in Loop: Header=BB36_85 Depth=2
	v_bfe_i32 v7, v19, 0, 8
	v_cvt_f32_i32_sdwa v7, sext(v7) dst_sel:DWORD dst_unused:UNUSED_PAD src0_sel:WORD_0
	v_fma_mixlo_f16 v7, v7, v40, v5 op_sel_hi:[0,1,1]
	s_branch .LBB36_80
.LBB36_351:                             ;   in Loop: Header=BB36_85 Depth=2
	v_readlane_b32 vcc_lo, v69, 59
	v_mov_b32_e32 v36, vcc_lo
	v_readlane_b32 vcc_lo, v69, 58
	v_add_co_u32_e32 v64, vcc, vcc_lo, v7
	v_addc_co_u32_e32 v65, vcc, v36, v8, vcc
	global_load_ubyte v36, v[64:65], off
	s_or_b64 exec, exec, s[88:89]
	s_and_saveexec_b64 s[88:89], s[76:77]
	s_cbranch_execz .LBB36_336
.LBB36_352:                             ;   in Loop: Header=BB36_85 Depth=2
	v_readlane_b32 vcc_lo, v69, 61
	v_mov_b32_e32 v34, vcc_lo
	v_readlane_b32 vcc_lo, v69, 60
	v_add_co_u32_e32 v64, vcc, vcc_lo, v7
	v_addc_co_u32_e32 v65, vcc, v34, v8, vcc
	global_load_ubyte v34, v[64:65], off
	s_or_b64 exec, exec, s[88:89]
	v_mov_b32_e32 v39, 0
	s_and_saveexec_b64 s[88:89], s[78:79]
	s_cbranch_execnz .LBB36_337
	s_branch .LBB36_338
.LBB36_353:                             ;   in Loop: Header=BB36_69 Depth=1
	v_readlane_b32 s16, v68, 48
	v_readlane_b32 s17, v68, 49
.LBB36_354:                             ;   in Loop: Header=BB36_69 Depth=1
	v_add_u32_e32 v6, s83, v4
	v_cmp_gt_i32_e64 s[4:5], s82, v25
	v_cmp_le_i32_e32 vcc, s82, v25
	s_and_saveexec_b64 s[6:7], vcc
	s_xor_b64 s[6:7], exec, s[6:7]
	s_cbranch_execz .LBB36_372
; %bb.355:                              ;   in Loop: Header=BB36_69 Depth=1
	v_cmp_gt_i32_e32 vcc, s82, v4
	s_and_saveexec_b64 s[8:9], vcc
	s_cbranch_execz .LBB36_357
; %bb.356:                              ;   in Loop: Header=BB36_69 Depth=1
	v_ashrrev_i32_e32 v7, 31, v6
	v_lshlrev_b64 v[28:29], 1, v[6:7]
	v_mov_b32_e32 v1, s87
	v_add_co_u32_e32 v28, vcc, s86, v28
	v_addc_co_u32_e32 v29, vcc, v1, v29, vcc
	global_load_ushort v1, v[28:29], off
	s_waitcnt vmcnt(0)
	v_add_f16_e32 v1, v1, v57
	global_store_short v[28:29], v1, off
.LBB36_357:                             ;   in Loop: Header=BB36_69 Depth=1
	s_or_b64 exec, exec, s[8:9]
	v_or_b32_e32 v1, 1, v4
	v_cmp_gt_i32_e32 vcc, s82, v1
	s_and_saveexec_b64 s[8:9], vcc
	s_cbranch_execz .LBB36_359
; %bb.358:                              ;   in Loop: Header=BB36_69 Depth=1
	v_ashrrev_i32_e32 v7, 31, v6
	v_readlane_b32 s10, v69, 3
	v_lshlrev_b64 v[28:29], 1, v[6:7]
	v_mov_b32_e32 v1, s10
	v_readlane_b32 s10, v69, 2
	v_add_co_u32_e32 v28, vcc, s10, v28
	v_addc_co_u32_e32 v29, vcc, v1, v29, vcc
	global_load_ushort v1, v[28:29], off
	s_waitcnt vmcnt(0)
	v_add_f16_e32 v1, v1, v9
	global_store_short v[28:29], v1, off
.LBB36_359:                             ;   in Loop: Header=BB36_69 Depth=1
	s_or_b64 exec, exec, s[8:9]
	v_or_b32_e32 v1, 2, v4
	v_cmp_gt_i32_e32 vcc, s82, v1
	s_and_saveexec_b64 s[8:9], vcc
	s_cbranch_execz .LBB36_361
; %bb.360:                              ;   in Loop: Header=BB36_69 Depth=1
	v_ashrrev_i32_e32 v7, 31, v6
	v_readlane_b32 s10, v69, 5
	v_lshlrev_b64 v[28:29], 1, v[6:7]
	v_mov_b32_e32 v1, s10
	v_readlane_b32 s10, v69, 4
	v_add_co_u32_e32 v28, vcc, s10, v28
	v_addc_co_u32_e32 v29, vcc, v1, v29, vcc
	global_load_ushort v1, v[28:29], off
	s_waitcnt vmcnt(0)
	v_add_f16_e32 v1, v1, v8
	global_store_short v[28:29], v1, off
.LBB36_361:                             ;   in Loop: Header=BB36_69 Depth=1
	;; [unrolled: 18-line block ×7, first 2 shown]
	s_or_b64 exec, exec, s[8:9]
                                        ; implicit-def: $vgpr6
                                        ; implicit-def: $vgpr57
                                        ; implicit-def: $vgpr9
                                        ; implicit-def: $vgpr8
                                        ; implicit-def: $vgpr55
                                        ; implicit-def: $vgpr53
                                        ; implicit-def: $vgpr52
                                        ; implicit-def: $vgpr49
                                        ; implicit-def: $vgpr47
.LBB36_372:                             ;   in Loop: Header=BB36_69 Depth=1
	s_andn2_saveexec_b64 s[6:7], s[6:7]
	s_cbranch_execz .LBB36_374
; %bb.373:                              ;   in Loop: Header=BB36_69 Depth=1
	v_ashrrev_i32_e32 v1, 31, v6
	v_lshrrev_b32_e32 v1, 29, v1
	v_add_u32_e32 v1, v6, v1
	v_ashrrev_i32_e32 v6, 3, v1
	v_ashrrev_i32_e32 v7, 31, v6
	v_lshlrev_b64 v[6:7], 4, v[6:7]
	v_mov_b32_e32 v1, s87
	v_add_co_u32_e32 v28, vcc, s86, v6
	v_addc_co_u32_e32 v29, vcc, v1, v7, vcc
	global_load_dwordx4 v[64:67], v[28:29], off
	s_waitcnt vmcnt(0)
	v_add_f16_e32 v1, v57, v64
	v_add_f16_sdwa v6, v9, v64 dst_sel:DWORD dst_unused:UNUSED_PAD src0_sel:DWORD src1_sel:WORD_1
	v_add_f16_e32 v7, v8, v65
	v_add_f16_sdwa v33, v55, v65 dst_sel:DWORD dst_unused:UNUSED_PAD src0_sel:DWORD src1_sel:WORD_1
	;; [unrolled: 2-line block ×4, first 2 shown]
	v_pack_b32_f16 v9, v9, v37
	v_pack_b32_f16 v8, v8, v35
	;; [unrolled: 1-line block ×4, first 2 shown]
	global_store_dwordx4 v[28:29], v[6:9], off
.LBB36_374:                             ;   in Loop: Header=BB36_69 Depth=1
	s_or_b64 exec, exec, s[6:7]
	v_cmp_gt_i32_e32 vcc, s82, v21
	v_cmp_le_i32_e64 s[6:7], s82, v21
	s_and_saveexec_b64 s[8:9], s[6:7]
	s_xor_b64 s[6:7], exec, s[8:9]
	s_cbranch_execz .LBB36_392
; %bb.375:                              ;   in Loop: Header=BB36_69 Depth=1
	s_and_saveexec_b64 s[8:9], s[4:5]
	s_cbranch_execz .LBB36_377
; %bb.376:                              ;   in Loop: Header=BB36_69 Depth=1
	v_ashrrev_i32_e32 v1, 31, v4
	v_mov_b32_e32 v7, s68
	v_add_co_u32_e64 v6, s[4:5], s83, v4
	v_addc_co_u32_e64 v7, s[4:5], v1, v7, s[4:5]
	v_readlane_b32 s4, v68, 1
	v_lshlrev_b64 v[6:7], 1, v[6:7]
	v_mov_b32_e32 v1, s4
	v_readlane_b32 s4, v68, 0
	v_add_co_u32_e64 v6, s[4:5], s4, v6
	v_addc_co_u32_e64 v7, s[4:5], v1, v7, s[4:5]
	global_load_ushort v1, v[6:7], off
	s_waitcnt vmcnt(0)
	v_add_f16_e32 v1, v1, v63
	global_store_short v[6:7], v1, off
.LBB36_377:                             ;   in Loop: Header=BB36_69 Depth=1
	s_or_b64 exec, exec, s[8:9]
	v_or_b32_e32 v1, 9, v4
	v_cmp_gt_i32_e64 s[4:5], s82, v1
	s_and_saveexec_b64 s[8:9], s[4:5]
	s_cbranch_execz .LBB36_379
; %bb.378:                              ;   in Loop: Header=BB36_69 Depth=1
	v_ashrrev_i32_e32 v1, 31, v4
	v_mov_b32_e32 v7, s68
	v_add_co_u32_e64 v6, s[4:5], s83, v4
	v_addc_co_u32_e64 v7, s[4:5], v1, v7, s[4:5]
	v_readlane_b32 s4, v68, 3
	v_lshlrev_b64 v[6:7], 1, v[6:7]
	v_mov_b32_e32 v1, s4
	v_readlane_b32 s4, v68, 2
	v_add_co_u32_e64 v6, s[4:5], s4, v6
	v_addc_co_u32_e64 v7, s[4:5], v1, v7, s[4:5]
	global_load_ushort v1, v[6:7], off
	s_waitcnt vmcnt(0)
	v_add_f16_e32 v1, v1, v62
	global_store_short v[6:7], v1, off
.LBB36_379:                             ;   in Loop: Header=BB36_69 Depth=1
	s_or_b64 exec, exec, s[8:9]
	v_or_b32_e32 v1, 10, v4
	v_cmp_gt_i32_e64 s[4:5], s82, v1
	;; [unrolled: 21-line block ×7, first 2 shown]
	s_and_saveexec_b64 s[8:9], s[4:5]
	s_cbranch_execz .LBB36_391
; %bb.390:                              ;   in Loop: Header=BB36_69 Depth=1
	v_ashrrev_i32_e32 v1, 31, v4
	v_mov_b32_e32 v7, s68
	v_add_co_u32_e64 v6, s[4:5], s83, v4
	v_addc_co_u32_e64 v7, s[4:5], v1, v7, s[4:5]
	v_readlane_b32 s4, v68, 15
	v_lshlrev_b64 v[6:7], 1, v[6:7]
	v_mov_b32_e32 v1, s4
	v_readlane_b32 s4, v68, 14
	v_add_co_u32_e64 v6, s[4:5], s4, v6
	v_addc_co_u32_e64 v7, s[4:5], v1, v7, s[4:5]
	global_load_ushort v1, v[6:7], off
	s_waitcnt vmcnt(0)
	v_add_f16_e32 v1, v1, v48
	global_store_short v[6:7], v1, off
.LBB36_391:                             ;   in Loop: Header=BB36_69 Depth=1
	s_or_b64 exec, exec, s[8:9]
                                        ; implicit-def: $vgpr63
                                        ; implicit-def: $vgpr62
                                        ; implicit-def: $vgpr61
                                        ; implicit-def: $vgpr59
                                        ; implicit-def: $vgpr56
                                        ; implicit-def: $vgpr54
                                        ; implicit-def: $vgpr51
                                        ; implicit-def: $vgpr48
                                        ; implicit-def: $vgpr25
.LBB36_392:                             ;   in Loop: Header=BB36_69 Depth=1
	s_andn2_saveexec_b64 s[6:7], s[6:7]
	s_cbranch_execz .LBB36_394
; %bb.393:                              ;   in Loop: Header=BB36_69 Depth=1
	v_add_u32_e32 v1, s83, v25
	v_ashrrev_i32_e32 v6, 31, v1
	v_lshrrev_b32_e32 v6, 29, v6
	v_add_u32_e32 v1, v1, v6
	v_ashrrev_i32_e32 v6, 3, v1
	v_ashrrev_i32_e32 v7, 31, v6
	v_lshlrev_b64 v[6:7], 4, v[6:7]
	v_mov_b32_e32 v1, s87
	v_add_co_u32_e64 v28, s[4:5], s86, v6
	v_addc_co_u32_e64 v29, s[4:5], v1, v7, s[4:5]
	global_load_ushort v1, v[28:29], off offset:14
	v_perm_b32 v9, v48, v51, s71
	v_perm_b32 v8, v54, v56, s71
	;; [unrolled: 1-line block ×3, first 2 shown]
	s_waitcnt vmcnt(0)
	v_add_f16_e32 v1, v63, v1
	v_perm_b32 v6, v62, v1, s71
	global_store_dwordx4 v[28:29], v[6:9], off
.LBB36_394:                             ;   in Loop: Header=BB36_69 Depth=1
	s_or_b64 exec, exec, s[6:7]
	v_cmp_gt_i32_e64 s[4:5], s82, v17
	v_cmp_le_i32_e64 s[6:7], s82, v17
	s_and_saveexec_b64 s[8:9], s[6:7]
	s_xor_b64 s[6:7], exec, s[8:9]
	s_cbranch_execz .LBB36_412
; %bb.395:                              ;   in Loop: Header=BB36_69 Depth=1
	s_and_saveexec_b64 s[8:9], vcc
	s_cbranch_execz .LBB36_397
; %bb.396:                              ;   in Loop: Header=BB36_69 Depth=1
	v_ashrrev_i32_e32 v1, 31, v4
	v_mov_b32_e32 v7, s68
	v_add_co_u32_e32 v6, vcc, s83, v4
	v_addc_co_u32_e32 v7, vcc, v1, v7, vcc
	v_readlane_b32 s10, v68, 17
	v_lshlrev_b64 v[6:7], 1, v[6:7]
	v_mov_b32_e32 v1, s10
	v_readlane_b32 s10, v68, 16
	v_add_co_u32_e32 v6, vcc, s10, v6
	v_addc_co_u32_e32 v7, vcc, v1, v7, vcc
	global_load_ushort v1, v[6:7], off
	s_waitcnt vmcnt(0)
	v_add_f16_e32 v1, v1, v44
	global_store_short v[6:7], v1, off
.LBB36_397:                             ;   in Loop: Header=BB36_69 Depth=1
	s_or_b64 exec, exec, s[8:9]
	v_or_b32_e32 v1, 17, v4
	v_cmp_gt_i32_e32 vcc, s82, v1
	s_and_saveexec_b64 s[8:9], vcc
	s_cbranch_execz .LBB36_399
; %bb.398:                              ;   in Loop: Header=BB36_69 Depth=1
	v_ashrrev_i32_e32 v1, 31, v4
	v_mov_b32_e32 v7, s68
	v_add_co_u32_e32 v6, vcc, s83, v4
	v_addc_co_u32_e32 v7, vcc, v1, v7, vcc
	v_readlane_b32 s10, v68, 19
	v_lshlrev_b64 v[6:7], 1, v[6:7]
	v_mov_b32_e32 v1, s10
	v_readlane_b32 s10, v68, 18
	v_add_co_u32_e32 v6, vcc, s10, v6
	v_addc_co_u32_e32 v7, vcc, v1, v7, vcc
	global_load_ushort v1, v[6:7], off
	s_waitcnt vmcnt(0)
	v_add_f16_e32 v1, v1, v42
	global_store_short v[6:7], v1, off
.LBB36_399:                             ;   in Loop: Header=BB36_69 Depth=1
	s_or_b64 exec, exec, s[8:9]
	v_or_b32_e32 v1, 18, v4
	v_cmp_gt_i32_e32 vcc, s82, v1
	;; [unrolled: 21-line block ×7, first 2 shown]
	s_and_saveexec_b64 s[8:9], vcc
	s_cbranch_execz .LBB36_411
; %bb.410:                              ;   in Loop: Header=BB36_69 Depth=1
	v_ashrrev_i32_e32 v1, 31, v4
	v_mov_b32_e32 v7, s68
	v_add_co_u32_e32 v6, vcc, s83, v4
	v_addc_co_u32_e32 v7, vcc, v1, v7, vcc
	v_readlane_b32 s10, v68, 31
	v_lshlrev_b64 v[6:7], 1, v[6:7]
	v_mov_b32_e32 v1, s10
	v_readlane_b32 s10, v68, 30
	v_add_co_u32_e32 v6, vcc, s10, v6
	v_addc_co_u32_e32 v7, vcc, v1, v7, vcc
	global_load_ushort v1, v[6:7], off
	s_waitcnt vmcnt(0)
	v_add_f16_e32 v1, v1, v30
	global_store_short v[6:7], v1, off
.LBB36_411:                             ;   in Loop: Header=BB36_69 Depth=1
	s_or_b64 exec, exec, s[8:9]
                                        ; implicit-def: $vgpr44
                                        ; implicit-def: $vgpr42
                                        ; implicit-def: $vgpr39
                                        ; implicit-def: $vgpr36
                                        ; implicit-def: $vgpr34
                                        ; implicit-def: $vgpr32
                                        ; implicit-def: $vgpr31
                                        ; implicit-def: $vgpr30
                                        ; implicit-def: $vgpr21
.LBB36_412:                             ;   in Loop: Header=BB36_69 Depth=1
	s_andn2_saveexec_b64 s[6:7], s[6:7]
	s_cbranch_execz .LBB36_414
; %bb.413:                              ;   in Loop: Header=BB36_69 Depth=1
	v_add_u32_e32 v1, s83, v21
	v_ashrrev_i32_e32 v6, 31, v1
	v_lshrrev_b32_e32 v6, 29, v6
	v_add_u32_e32 v1, v1, v6
	v_ashrrev_i32_e32 v6, 3, v1
	v_ashrrev_i32_e32 v7, 31, v6
	v_lshlrev_b64 v[6:7], 4, v[6:7]
	v_mov_b32_e32 v1, s87
	v_add_co_u32_e32 v28, vcc, s86, v6
	v_addc_co_u32_e32 v29, vcc, v1, v7, vcc
	v_perm_b32 v9, v30, v31, s71
	v_perm_b32 v8, v32, v34, s71
	;; [unrolled: 1-line block ×4, first 2 shown]
	global_store_dwordx4 v[28:29], v[6:9], off
.LBB36_414:                             ;   in Loop: Header=BB36_69 Depth=1
	s_or_b64 exec, exec, s[6:7]
	v_cmp_le_i32_e32 vcc, s82, v18
	s_and_saveexec_b64 s[6:7], vcc
	s_xor_b64 s[6:7], exec, s[6:7]
	s_cbranch_execz .LBB36_432
; %bb.415:                              ;   in Loop: Header=BB36_69 Depth=1
	s_and_saveexec_b64 s[8:9], s[4:5]
	s_cbranch_execz .LBB36_417
; %bb.416:                              ;   in Loop: Header=BB36_69 Depth=1
	v_ashrrev_i32_e32 v1, 31, v4
	v_mov_b32_e32 v7, s68
	v_add_co_u32_e32 v6, vcc, s83, v4
	v_addc_co_u32_e32 v7, vcc, v1, v7, vcc
	v_readlane_b32 s4, v68, 33
	v_lshlrev_b64 v[6:7], 1, v[6:7]
	v_mov_b32_e32 v1, s4
	v_readlane_b32 s4, v68, 32
	v_add_co_u32_e32 v6, vcc, s4, v6
	v_addc_co_u32_e32 v7, vcc, v1, v7, vcc
	global_load_ushort v1, v[6:7], off
	s_waitcnt vmcnt(0)
	v_add_f16_e32 v1, v1, v27
	global_store_short v[6:7], v1, off
.LBB36_417:                             ;   in Loop: Header=BB36_69 Depth=1
	s_or_b64 exec, exec, s[8:9]
	v_or_b32_e32 v1, 25, v4
	v_cmp_gt_i32_e32 vcc, s82, v1
	s_and_saveexec_b64 s[4:5], vcc
	s_cbranch_execz .LBB36_419
; %bb.418:                              ;   in Loop: Header=BB36_69 Depth=1
	v_ashrrev_i32_e32 v1, 31, v4
	v_mov_b32_e32 v7, s68
	v_add_co_u32_e32 v6, vcc, s83, v4
	v_addc_co_u32_e32 v7, vcc, v1, v7, vcc
	v_readlane_b32 s8, v68, 35
	v_lshlrev_b64 v[6:7], 1, v[6:7]
	v_mov_b32_e32 v1, s8
	v_readlane_b32 s8, v68, 34
	v_add_co_u32_e32 v6, vcc, s8, v6
	v_addc_co_u32_e32 v7, vcc, v1, v7, vcc
	global_load_ushort v1, v[6:7], off
	s_waitcnt vmcnt(0)
	v_add_f16_e32 v1, v1, v26
	global_store_short v[6:7], v1, off
.LBB36_419:                             ;   in Loop: Header=BB36_69 Depth=1
	s_or_b64 exec, exec, s[4:5]
	v_or_b32_e32 v1, 26, v4
	v_cmp_gt_i32_e32 vcc, s82, v1
	s_and_saveexec_b64 s[4:5], vcc
	;; [unrolled: 21-line block ×7, first 2 shown]
	s_cbranch_execz .LBB36_431
; %bb.430:                              ;   in Loop: Header=BB36_69 Depth=1
	v_ashrrev_i32_e32 v1, 31, v4
	v_mov_b32_e32 v7, s68
	v_add_co_u32_e32 v6, vcc, s83, v4
	v_addc_co_u32_e32 v7, vcc, v1, v7, vcc
	v_readlane_b32 s8, v68, 47
	v_lshlrev_b64 v[6:7], 1, v[6:7]
	v_mov_b32_e32 v1, s8
	v_readlane_b32 s8, v68, 46
	v_add_co_u32_e32 v6, vcc, s8, v6
	v_addc_co_u32_e32 v7, vcc, v1, v7, vcc
	global_load_ushort v1, v[6:7], off
	s_waitcnt vmcnt(0)
	v_add_f16_e32 v1, v1, v5
	global_store_short v[6:7], v1, off
.LBB36_431:                             ;   in Loop: Header=BB36_69 Depth=1
	s_or_b64 exec, exec, s[4:5]
                                        ; implicit-def: $vgpr27
                                        ; implicit-def: $vgpr26
                                        ; implicit-def: $vgpr24
                                        ; implicit-def: $vgpr23
                                        ; implicit-def: $vgpr22
                                        ; implicit-def: $vgpr20
                                        ; implicit-def: $vgpr19
                                        ; implicit-def: $vgpr5
                                        ; implicit-def: $vgpr17
.LBB36_432:                             ;   in Loop: Header=BB36_69 Depth=1
	s_andn2_saveexec_b64 s[4:5], s[6:7]
	s_cbranch_execz .LBB36_68
; %bb.433:                              ;   in Loop: Header=BB36_69 Depth=1
	v_add_u32_e32 v1, s83, v17
	v_ashrrev_i32_e32 v4, 31, v1
	v_lshrrev_b32_e32 v4, 29, v4
	v_add_u32_e32 v1, v1, v4
	v_ashrrev_i32_e32 v6, 3, v1
	v_ashrrev_i32_e32 v7, 31, v6
	v_lshlrev_b64 v[6:7], 4, v[6:7]
	v_mov_b32_e32 v1, s87
	v_add_co_u32_e32 v8, vcc, s86, v6
	v_addc_co_u32_e32 v9, vcc, v1, v7, vcc
	v_perm_b32 v7, v5, v19, s71
	v_perm_b32 v6, v20, v22, s71
	;; [unrolled: 1-line block ×4, first 2 shown]
	global_store_dwordx4 v[8:9], v[4:7], off
	s_branch .LBB36_68
.LBB36_434:
	s_endpgm
	.section	.rodata,"a",@progbits
	.p2align	6, 0x0
	.amdhsa_kernel _Z27kspmm_coo_very_sparse_naiveIaLi32ELi8EEvPiS0_S0_S0_S0_P6__halfPT_S2_Pfiiii
		.amdhsa_group_segment_fixed_size 4096
		.amdhsa_private_segment_fixed_size 208
		.amdhsa_kernarg_size 344
		.amdhsa_user_sgpr_count 8
		.amdhsa_user_sgpr_private_segment_buffer 1
		.amdhsa_user_sgpr_dispatch_ptr 0
		.amdhsa_user_sgpr_queue_ptr 0
		.amdhsa_user_sgpr_kernarg_segment_ptr 1
		.amdhsa_user_sgpr_dispatch_id 0
		.amdhsa_user_sgpr_flat_scratch_init 1
		.amdhsa_user_sgpr_kernarg_preload_length 0
		.amdhsa_user_sgpr_kernarg_preload_offset 0
		.amdhsa_user_sgpr_private_segment_size 0
		.amdhsa_uses_dynamic_stack 0
		.amdhsa_system_sgpr_private_segment_wavefront_offset 1
		.amdhsa_system_sgpr_workgroup_id_x 1
		.amdhsa_system_sgpr_workgroup_id_y 0
		.amdhsa_system_sgpr_workgroup_id_z 0
		.amdhsa_system_sgpr_workgroup_info 0
		.amdhsa_system_vgpr_workitem_id 0
		.amdhsa_next_free_vgpr 70
		.amdhsa_next_free_sgpr 100
		.amdhsa_accum_offset 72
		.amdhsa_reserve_vcc 1
		.amdhsa_reserve_flat_scratch 0
		.amdhsa_float_round_mode_32 0
		.amdhsa_float_round_mode_16_64 0
		.amdhsa_float_denorm_mode_32 3
		.amdhsa_float_denorm_mode_16_64 3
		.amdhsa_dx10_clamp 1
		.amdhsa_ieee_mode 1
		.amdhsa_fp16_overflow 0
		.amdhsa_tg_split 0
		.amdhsa_exception_fp_ieee_invalid_op 0
		.amdhsa_exception_fp_denorm_src 0
		.amdhsa_exception_fp_ieee_div_zero 0
		.amdhsa_exception_fp_ieee_overflow 0
		.amdhsa_exception_fp_ieee_underflow 0
		.amdhsa_exception_fp_ieee_inexact 0
		.amdhsa_exception_int_div_zero 0
	.end_amdhsa_kernel
	.section	.text._Z27kspmm_coo_very_sparse_naiveIaLi32ELi8EEvPiS0_S0_S0_S0_P6__halfPT_S2_Pfiiii,"axG",@progbits,_Z27kspmm_coo_very_sparse_naiveIaLi32ELi8EEvPiS0_S0_S0_S0_P6__halfPT_S2_Pfiiii,comdat
.Lfunc_end36:
	.size	_Z27kspmm_coo_very_sparse_naiveIaLi32ELi8EEvPiS0_S0_S0_S0_P6__halfPT_S2_Pfiiii, .Lfunc_end36-_Z27kspmm_coo_very_sparse_naiveIaLi32ELi8EEvPiS0_S0_S0_S0_P6__halfPT_S2_Pfiiii
                                        ; -- End function
	.section	.AMDGPU.csdata,"",@progbits
; Kernel info:
; codeLenInByte = 17780
; NumSgprs: 104
; NumVgprs: 70
; NumAgprs: 0
; TotalNumVgprs: 70
; ScratchSize: 208
; MemoryBound: 0
; FloatMode: 240
; IeeeMode: 1
; LDSByteSize: 4096 bytes/workgroup (compile time only)
; SGPRBlocks: 12
; VGPRBlocks: 8
; NumSGPRsForWavesPerEU: 104
; NumVGPRsForWavesPerEU: 70
; AccumOffset: 72
; Occupancy: 7
; WaveLimiterHint : 1
; COMPUTE_PGM_RSRC2:SCRATCH_EN: 1
; COMPUTE_PGM_RSRC2:USER_SGPR: 8
; COMPUTE_PGM_RSRC2:TRAP_HANDLER: 0
; COMPUTE_PGM_RSRC2:TGID_X_EN: 1
; COMPUTE_PGM_RSRC2:TGID_Y_EN: 0
; COMPUTE_PGM_RSRC2:TGID_Z_EN: 0
; COMPUTE_PGM_RSRC2:TIDIG_COMP_CNT: 0
; COMPUTE_PGM_RSRC3_GFX90A:ACCUM_OFFSET: 17
; COMPUTE_PGM_RSRC3_GFX90A:TG_SPLIT: 0
	.section	.text._Z22kdequant_mm_int32_fp16ILi4ELi512EEvPiPfS1_P6__halfS3_iii,"axG",@progbits,_Z22kdequant_mm_int32_fp16ILi4ELi512EEvPiPfS1_P6__halfS3_iii,comdat
